;; amdgpu-corpus repo=ROCm/rocFFT kind=compiled arch=gfx1201 opt=O3
	.text
	.amdgcn_target "amdgcn-amd-amdhsa--gfx1201"
	.amdhsa_code_object_version 6
	.protected	bluestein_single_back_len340_dim1_half_op_CI_CI ; -- Begin function bluestein_single_back_len340_dim1_half_op_CI_CI
	.globl	bluestein_single_back_len340_dim1_half_op_CI_CI
	.p2align	8
	.type	bluestein_single_back_len340_dim1_half_op_CI_CI,@function
bluestein_single_back_len340_dim1_half_op_CI_CI: ; @bluestein_single_back_len340_dim1_half_op_CI_CI
; %bb.0:
	s_load_b128 s[4:7], s[0:1], 0x28
	v_mul_u32_u24_e32 v1, 0x788, v0
	s_mov_b32 s2, exec_lo
	s_delay_alu instid0(VALU_DEP_1) | instskip(NEXT) | instid1(VALU_DEP_1)
	v_lshrrev_b32_e32 v1, 16, v1
	v_mad_co_u64_u32 v[8:9], null, ttmp9, 3, v[1:2]
	v_mov_b32_e32 v9, 0
                                        ; kill: def $vgpr2 killed $sgpr0 killed $exec
	s_wait_kmcnt 0x0
	s_delay_alu instid0(VALU_DEP_1)
	v_cmpx_gt_u64_e64 s[4:5], v[8:9]
	s_cbranch_execz .LBB0_15
; %bb.1:
	v_mul_hi_u32 v2, 0xaaaaaaab, v8
	v_mul_lo_u16 v1, v1, 34
	s_clause 0x1
	s_load_b64 s[12:13], s[0:1], 0x0
	s_load_b64 s[14:15], s[0:1], 0x38
	s_delay_alu instid0(VALU_DEP_1) | instskip(NEXT) | instid1(VALU_DEP_3)
	v_sub_nc_u16 v0, v0, v1
	v_lshrrev_b32_e32 v2, 1, v2
	s_delay_alu instid0(VALU_DEP_2) | instskip(SKIP_1) | instid1(VALU_DEP_3)
	v_and_b32_e32 v28, 0xffff, v0
	v_cmp_gt_u16_e32 vcc_lo, 20, v0
	v_lshl_add_u32 v2, v2, 1, v2
	s_delay_alu instid0(VALU_DEP_3) | instskip(SKIP_1) | instid1(VALU_DEP_3)
	v_lshlrev_b32_e32 v26, 2, v28
	v_or_b32_e32 v27, 0xa0, v28
	v_sub_nc_u32_e32 v1, v8, v2
	v_or_b32_e32 v25, 0x140, v28
	s_delay_alu instid0(VALU_DEP_2) | instskip(NEXT) | instid1(VALU_DEP_1)
	v_mul_u32_u24_e32 v23, 0x154, v1
	v_lshlrev_b32_e32 v29, 2, v23
	s_and_saveexec_b32 s3, vcc_lo
	s_cbranch_execz .LBB0_3
; %bb.2:
	s_load_b64 s[4:5], s[0:1], 0x18
	s_wait_kmcnt 0x0
	s_load_b128 s[8:11], s[4:5], 0x0
	s_clause 0x7
	global_load_b32 v14, v26, s[12:13]
	global_load_b32 v15, v26, s[12:13] offset:80
	global_load_b32 v16, v26, s[12:13] offset:160
	;; [unrolled: 1-line block ×7, first 2 shown]
	s_wait_kmcnt 0x0
	v_mad_co_u64_u32 v[0:1], null, s10, v8, 0
	v_mad_co_u64_u32 v[2:3], null, s8, v28, 0
	v_mad_co_u64_u32 v[6:7], null, s8, v25, 0
	v_mad_co_u64_u32 v[4:5], null, s8, v27, 0
	s_mul_u64 s[4:5], s[8:9], 0x50
	s_delay_alu instid0(VALU_DEP_3) | instskip(NEXT) | instid1(VALU_DEP_3)
	v_mad_co_u64_u32 v[9:10], null, s11, v8, v[1:2]
	v_mov_b32_e32 v1, v7
	s_delay_alu instid0(VALU_DEP_3) | instskip(NEXT) | instid1(VALU_DEP_4)
	v_mad_co_u64_u32 v[10:11], null, s9, v28, v[3:4]
	v_mad_co_u64_u32 v[11:12], null, s9, v27, v[5:6]
	s_delay_alu instid0(VALU_DEP_3)
	v_mad_co_u64_u32 v[12:13], null, s9, v25, v[1:2]
	v_mov_b32_e32 v1, v9
	s_clause 0x8
	global_load_b32 v13, v26, s[12:13] offset:640
	global_load_b32 v22, v26, s[12:13] offset:720
	global_load_b32 v24, v26, s[12:13] offset:800
	global_load_b32 v30, v26, s[12:13] offset:880
	global_load_b32 v31, v26, s[12:13] offset:960
	global_load_b32 v32, v26, s[12:13] offset:1040
	global_load_b32 v33, v26, s[12:13] offset:1120
	global_load_b32 v34, v26, s[12:13] offset:1200
	global_load_b32 v35, v26, s[12:13] offset:1280
	v_mov_b32_e32 v3, v10
	v_mov_b32_e32 v5, v11
	v_lshlrev_b64_e32 v[0:1], 2, v[0:1]
	v_mov_b32_e32 v7, v12
	s_delay_alu instid0(VALU_DEP_4) | instskip(NEXT) | instid1(VALU_DEP_4)
	v_lshlrev_b64_e32 v[2:3], 2, v[2:3]
	v_lshlrev_b64_e32 v[4:5], 2, v[4:5]
	s_delay_alu instid0(VALU_DEP_4) | instskip(NEXT) | instid1(VALU_DEP_1)
	v_add_co_u32 v9, s2, s6, v0
	v_add_co_ci_u32_e64 v10, s2, s7, v1, s2
	v_lshlrev_b64_e32 v[0:1], 2, v[6:7]
	s_delay_alu instid0(VALU_DEP_3) | instskip(SKIP_1) | instid1(VALU_DEP_3)
	v_add_co_u32 v2, s2, v9, v2
	s_wait_alu 0xf1ff
	v_add_co_ci_u32_e64 v3, s2, v10, v3, s2
	v_add_co_u32 v4, s2, v9, v4
	s_wait_alu 0xf1ff
	v_add_co_ci_u32_e64 v5, s2, v10, v5, s2
	v_add_co_u32 v0, s2, v9, v0
	s_wait_alu 0xf1ff
	v_add_co_ci_u32_e64 v1, s2, v10, v1, s2
	s_clause 0x2
	global_load_b32 v11, v[2:3], off
	global_load_b32 v12, v[4:5], off
	;; [unrolled: 1-line block ×3, first 2 shown]
	s_wait_alu 0xfffe
	v_add_co_u32 v2, s2, v2, s4
	s_wait_alu 0xf1ff
	v_add_co_ci_u32_e64 v3, s2, s5, v3, s2
	s_delay_alu instid0(VALU_DEP_2) | instskip(SKIP_1) | instid1(VALU_DEP_2)
	v_add_co_u32 v4, s2, v2, s4
	s_wait_alu 0xf1ff
	v_add_co_ci_u32_e64 v5, s2, s5, v3, s2
	global_load_b32 v37, v[2:3], off
	v_add_co_u32 v0, s2, v4, s4
	global_load_b32 v38, v[4:5], off
	s_wait_alu 0xf1ff
	v_add_co_ci_u32_e64 v1, s2, s5, v5, s2
	global_load_b32 v39, v[0:1], off
	v_add_co_u32 v2, s2, v0, s4
	s_wait_alu 0xf1ff
	v_add_co_ci_u32_e64 v3, s2, s5, v1, s2
	s_delay_alu instid0(VALU_DEP_2) | instskip(SKIP_1) | instid1(VALU_DEP_2)
	v_add_co_u32 v6, s2, v2, s4
	s_wait_alu 0xf1ff
	v_add_co_ci_u32_e64 v7, s2, s5, v3, s2
	s_delay_alu instid0(VALU_DEP_2) | instskip(SKIP_1) | instid1(VALU_DEP_2)
	;; [unrolled: 4-line block ×3, first 2 shown]
	v_add_co_u32 v9, s2, v4, s4
	s_wait_alu 0xf1ff
	v_add_co_ci_u32_e64 v10, s2, s5, v5, s2
	global_load_b32 v40, v[2:3], off
	global_load_b32 v6, v[6:7], off
	;; [unrolled: 1-line block ×3, first 2 shown]
	v_mad_co_u64_u32 v[0:1], null, 0xa0, s8, v[9:10]
	s_delay_alu instid0(VALU_DEP_1)
	v_mad_co_u64_u32 v[1:2], null, 0xa0, s9, v[1:2]
	global_load_b32 v5, v[9:10], off
	global_load_b32 v7, v[0:1], off
	v_add_co_u32 v0, s2, v0, s4
	s_wait_alu 0xf1ff
	v_add_co_ci_u32_e64 v1, s2, s5, v1, s2
	s_delay_alu instid0(VALU_DEP_2) | instskip(SKIP_1) | instid1(VALU_DEP_2)
	v_add_co_u32 v2, s2, v0, s4
	s_wait_alu 0xf1ff
	v_add_co_ci_u32_e64 v3, s2, s5, v1, s2
	global_load_b32 v9, v[0:1], off
	v_add_co_u32 v0, s2, v2, s4
	s_wait_alu 0xf1ff
	v_add_co_ci_u32_e64 v1, s2, s5, v3, s2
	global_load_b32 v10, v[2:3], off
	;; [unrolled: 4-line block ×5, first 2 shown]
	global_load_b32 v1, v[2:3], off
	v_lshl_add_u32 v3, v28, 2, v29
	v_add_nc_u32_e32 v2, v29, v26
	s_delay_alu instid0(VALU_DEP_1)
	v_add_nc_u32_e32 v43, 0x400, v2
	s_wait_loadcnt 0x21
	v_lshrrev_b32_e32 v44, 16, v14
	s_wait_loadcnt 0x20
	v_lshrrev_b32_e32 v45, 16, v15
	;; [unrolled: 2-line block ×18, first 2 shown]
	v_mul_f16_e32 v62, v44, v11
	s_wait_loadcnt 0xf
	v_lshrrev_b32_e32 v63, 16, v12
	s_wait_loadcnt 0xe
	v_lshrrev_b32_e32 v65, 16, v36
	v_mul_f16_e32 v64, v52, v12
	v_mul_f16_e32 v44, v44, v61
	v_fma_f16 v61, v14, v61, -v62
	v_mul_f16_e32 v66, v60, v36
	v_mul_f16_e32 v52, v52, v63
	;; [unrolled: 1-line block ×3, first 2 shown]
	v_fmac_f16_e32 v44, v14, v11
	v_fma_f16 v63, v13, v63, -v64
	v_fma_f16 v64, v35, v65, -v66
	s_wait_loadcnt 0xd
	v_lshrrev_b32_e32 v62, 16, v37
	v_mul_f16_e32 v67, v45, v37
	v_fmac_f16_e32 v52, v13, v12
	v_fmac_f16_e32 v60, v35, v36
	v_pack_b32_f16 v12, v44, v61
	v_mul_f16_e32 v11, v45, v62
	v_fma_f16 v14, v15, v62, -v67
	s_wait_loadcnt 0xc
	v_lshrrev_b32_e32 v45, 16, v38
	v_mul_f16_e32 v62, v46, v38
	s_wait_loadcnt 0xb
	v_lshrrev_b32_e32 v35, 16, v39
	v_fmac_f16_e32 v11, v15, v37
	v_mul_f16_e32 v36, v47, v39
	v_mul_f16_e32 v13, v46, v45
	ds_store_b32 v3, v12
	v_fma_f16 v15, v16, v45, -v62
	v_pack_b32_f16 v3, v11, v14
	v_mul_f16_e32 v11, v47, v35
	v_fmac_f16_e32 v13, v16, v38
	v_fma_f16 v16, v17, v35, -v36
	v_pack_b32_f16 v37, v52, v63
	s_delay_alu instid0(VALU_DEP_4) | instskip(NEXT) | instid1(VALU_DEP_4)
	v_fmac_f16_e32 v11, v17, v39
	v_pack_b32_f16 v13, v13, v15
	s_delay_alu instid0(VALU_DEP_2)
	v_pack_b32_f16 v11, v11, v16
	s_wait_loadcnt 0xa
	v_lshrrev_b32_e32 v12, 16, v40
	v_mul_f16_e32 v14, v48, v40
	s_wait_loadcnt 0x9
	v_mul_f16_e32 v17, v49, v6
	s_wait_loadcnt 0x8
	v_lshrrev_b32_e32 v16, 16, v4
	v_mul_f16_e32 v35, v50, v4
	v_mul_f16_e32 v15, v48, v12
	v_fma_f16 v12, v18, v12, -v14
	v_lshrrev_b32_e32 v14, 16, v6
	ds_store_2addr_b32 v2, v3, v13 offset0:20 offset1:40
	v_fmac_f16_e32 v15, v18, v40
	v_mul_f16_e32 v18, v49, v14
	v_fma_f16 v14, v19, v14, -v17
	v_mul_f16_e32 v17, v50, v16
	s_delay_alu instid0(VALU_DEP_4) | instskip(NEXT) | instid1(VALU_DEP_4)
	v_pack_b32_f16 v12, v15, v12
	v_fmac_f16_e32 v18, v19, v6
	v_fma_f16 v6, v20, v16, -v35
	s_wait_loadcnt 0x7
	v_lshrrev_b32_e32 v36, 16, v5
	v_mul_f16_e32 v16, v51, v5
	v_fmac_f16_e32 v17, v20, v4
	s_wait_loadcnt 0x6
	v_lshrrev_b32_e32 v3, 16, v7
	v_pack_b32_f16 v14, v18, v14
	v_mul_f16_e32 v4, v51, v36
	v_fma_f16 v15, v21, v36, -v16
	v_pack_b32_f16 v6, v17, v6
	ds_store_2addr_b32 v2, v11, v12 offset0:60 offset1:80
	ds_store_2addr_b32 v2, v14, v6 offset0:100 offset1:120
	v_fmac_f16_e32 v4, v21, v5
	v_mul_f16_e32 v5, v53, v7
	v_mul_f16_e32 v6, v53, v3
	s_wait_loadcnt 0x5
	v_lshrrev_b32_e32 v11, 16, v9
	v_mul_f16_e32 v12, v54, v9
	v_pack_b32_f16 v4, v4, v15
	v_fma_f16 v3, v22, v3, -v5
	v_fmac_f16_e32 v6, v22, v7
	s_wait_loadcnt 0x4
	v_lshrrev_b32_e32 v7, 16, v10
	v_fma_f16 v5, v24, v11, -v12
	ds_store_2addr_b32 v2, v4, v37 offset0:140 offset1:160
	v_mul_f16_e32 v4, v54, v11
	v_mul_f16_e32 v11, v55, v10
	v_pack_b32_f16 v3, v6, v3
	s_wait_loadcnt 0x3
	v_lshrrev_b32_e32 v6, 16, v41
	v_fmac_f16_e32 v4, v24, v9
	v_mul_f16_e32 v9, v55, v7
	v_fma_f16 v7, v30, v7, -v11
	v_mul_f16_e32 v11, v56, v41
	s_wait_loadcnt 0x1
	v_lshrrev_b32_e32 v12, 16, v0
	v_pack_b32_f16 v4, v4, v5
	v_mul_f16_e32 v5, v56, v6
	v_fmac_f16_e32 v9, v30, v10
	v_lshrrev_b32_e32 v10, 16, v42
	v_fma_f16 v6, v31, v6, -v11
	v_mul_f16_e32 v11, v57, v42
	s_wait_loadcnt 0x0
	v_lshrrev_b32_e32 v14, 16, v1
	v_mul_f16_e32 v15, v58, v12
	v_mul_f16_e32 v13, v57, v10
	;; [unrolled: 1-line block ×3, first 2 shown]
	v_fma_f16 v10, v32, v10, -v11
	v_mul_f16_e32 v11, v58, v0
	v_mul_f16_e32 v17, v59, v14
	v_fmac_f16_e32 v5, v31, v41
	v_fmac_f16_e32 v13, v32, v42
	;; [unrolled: 1-line block ×3, first 2 shown]
	v_fma_f16 v11, v33, v12, -v11
	v_fma_f16 v0, v34, v14, -v16
	v_fmac_f16_e32 v17, v34, v1
	v_pack_b32_f16 v1, v9, v7
	v_pack_b32_f16 v5, v5, v6
	v_pack_b32_f16 v6, v13, v10
	v_pack_b32_f16 v7, v15, v11
	v_pack_b32_f16 v0, v17, v0
	v_pack_b32_f16 v9, v60, v64
	ds_store_2addr_b32 v2, v3, v4 offset0:180 offset1:200
	ds_store_2addr_b32 v2, v1, v5 offset0:220 offset1:240
	;; [unrolled: 1-line block ×4, first 2 shown]
.LBB0_3:
	s_or_b32 exec_lo, exec_lo, s3
	s_clause 0x1
	s_load_b64 s[4:5], s[0:1], 0x20
	s_load_b64 s[2:3], s[0:1], 0x8
	v_mov_b32_e32 v6, 0
                                        ; kill: def $vgpr0 killed $sgpr0 killed $exec
	global_wb scope:SCOPE_SE
	s_wait_dscnt 0x0
	s_wait_kmcnt 0x0
	s_barrier_signal -1
	s_barrier_wait -1
	global_inv scope:SCOPE_SE
                                        ; implicit-def: $vgpr24
                                        ; implicit-def: $vgpr1
                                        ; implicit-def: $vgpr3
                                        ; implicit-def: $vgpr5
                                        ; implicit-def: $vgpr18
                                        ; implicit-def: $vgpr22
                                        ; implicit-def: $vgpr20
                                        ; implicit-def: $vgpr15
                                        ; implicit-def: $vgpr75
	s_and_saveexec_b32 s0, vcc_lo
	s_cbranch_execz .LBB0_5
; %bb.4:
	v_lshl_add_u32 v9, v23, 2, v26
	ds_load_2addr_b32 v[6:7], v9 offset1:20
	ds_load_2addr_b32 v[14:15], v9 offset0:40 offset1:60
	ds_load_2addr_b32 v[19:20], v9 offset0:80 offset1:100
	v_add_nc_u32_e32 v0, 0x200, v9
	v_add_nc_u32_e32 v1, 0x400, v9
	ds_load_2addr_b32 v[21:22], v9 offset0:120 offset1:140
	ds_load_2addr_b32 v[17:18], v9 offset0:160 offset1:180
	;; [unrolled: 1-line block ×5, first 2 shown]
	ds_load_b32 v24, v9 offset:1280
	s_wait_dscnt 0x7
	v_alignbit_b32 v75, v14, v14, 16
.LBB0_5:
	s_wait_alu 0xfffe
	s_or_b32 exec_lo, exec_lo, s0
	s_wait_dscnt 0x0
	v_pk_add_f16 v39, v7, v24 neg_lo:[0,1] neg_hi:[0,1]
	v_pk_add_f16 v41, v75, v1 op_sel:[1,0] op_sel_hi:[0,1] neg_lo:[0,1] neg_hi:[0,1]
	v_pk_add_f16 v30, v24, v7
	v_pk_add_f16 v40, v1, v75 op_sel:[1,0] op_sel_hi:[0,1]
	v_pk_add_f16 v42, v15, v0 neg_lo:[0,1] neg_hi:[0,1]
	v_lshrrev_b32_e32 v35, 16, v39
	v_lshrrev_b32_e32 v36, 16, v41
	v_pk_add_f16 v45, v19, v3 neg_lo:[0,1] neg_hi:[0,1]
	v_lshrrev_b32_e32 v85, 16, v40
	v_lshrrev_b32_e32 v37, 16, v42
	v_mul_f16_e32 v51, 0xb5c8, v35
	v_mul_f16_e32 v58, 0xbb29, v35
	;; [unrolled: 1-line block ×5, first 2 shown]
	v_fmamk_f16 v9, v30, 0x3b76, v51
	v_fmamk_f16 v10, v30, 0x3722, v58
	;; [unrolled: 1-line block ×4, first 2 shown]
	v_mul_f16_e32 v67, 0xb1e1, v36
	v_add_f16_e32 v9, v9, v6
	v_add_f16_e32 v10, v10, v6
	;; [unrolled: 1-line block ×3, first 2 shown]
	v_pk_add_f16 v43, v0, v15
	v_fmamk_f16 v13, v85, 0xbbdd, v67
	v_add_f16_e32 v9, v12, v9
	v_fmamk_f16 v12, v85, 0xb8d2, v60
	v_mul_f16_e32 v52, 0xbb29, v37
	v_mul_f16_e32 v65, 0x31e1, v37
	v_lshrrev_b32_e32 v38, 16, v45
	v_add_f16_e32 v11, v13, v11
	v_add_f16_e32 v10, v12, v10
	v_fmamk_f16 v12, v43, 0x3722, v52
	v_mul_f16_e32 v72, 0x3bb2, v37
	v_fmamk_f16 v13, v43, 0xbbdd, v65
	v_pk_add_f16 v44, v3, v19
	v_mul_f16_e32 v56, 0xbbf7, v38
	v_pk_add_f16 v47, v20, v2 neg_lo:[0,1] neg_hi:[0,1]
	v_add_f16_e32 v9, v12, v9
	v_fmamk_f16 v12, v43, 0xb461, v72
	v_add_f16_e32 v10, v13, v10
	v_fmamk_f16 v13, v44, 0x2de8, v56
	v_mul_f16_e32 v70, 0x3bb2, v38
	v_mul_f16_e32 v74, 0x35c8, v38
	v_lshrrev_b32_e32 v104, 16, v47
	v_pk_add_f16 v53, v21, v5 neg_lo:[0,1] neg_hi:[0,1]
	v_pk_mul_f16 v31, 0x3b7639e9, v30
	v_add_f16_e32 v11, v12, v11
	v_add_f16_e32 v9, v13, v9
	v_fmamk_f16 v12, v44, 0xb461, v70
	v_fmamk_f16 v13, v44, 0x3b76, v74
	v_pk_add_f16 v48, v2, v20
	v_mul_f16_e32 v59, 0xbbb2, v104
	v_lshrrev_b32_e32 v106, 16, v53
	v_mul_f16_e32 v71, 0x3964, v104
	v_pk_mul_f16 v16, 0xbbf7b964, v41
	v_pk_fma_f16 v46, 0xb964b5c8, v39, v31 op_sel:[0,0,1] op_sel_hi:[1,1,0]
	v_add_f16_e32 v10, v12, v10
	v_add_f16_e32 v11, v13, v11
	v_fmamk_f16 v12, v48, 0xb461, v59
	v_pk_add_f16 v54, v5, v21
	v_mul_f16_e32 v63, 0xba62, v106
	v_fmamk_f16 v13, v48, 0x39e9, v71
	v_pk_fma_f16 v49, 0x2de839e9, v40, v16
	v_pk_mul_f16 v32, 0x3722b8d2, v43
	v_add_f16_e32 v9, v12, v9
	v_fmamk_f16 v12, v54, 0xb8d2, v63
	v_add_f16_e32 v10, v13, v10
	v_lshrrev_b32_e32 v13, 16, v46
	v_pk_fma_f16 v55, 0xba62bb29, v42, v32 op_sel:[0,0,1] op_sel_hi:[1,1,0]
	v_pk_mul_f16 v33, 0x2de8bbdd, v44
	v_mul_f16_e32 v81, 0xbb29, v104
	v_pk_add_f16 v57, v22, v4 neg_lo:[0,1] neg_hi:[0,1]
	v_add_f16_e32 v9, v12, v9
	v_add_f16_e32 v12, v13, v6
	v_lshrrev_b32_e32 v13, 16, v49
	v_pk_fma_f16 v61, 0xb1e1bbf7, v45, v33 op_sel:[0,0,1] op_sel_hi:[1,1,0]
	v_pk_mul_f16 v34, 0xb461bacd, v48
	v_fmamk_f16 v14, v48, 0x3722, v81
	v_mul_f16_e32 v82, 0xb5c8, v106
	v_lshrrev_b32_e32 v120, 16, v57
	v_mul_f16_e32 v86, 0xb836, v106
	v_add_f16_e32 v12, v13, v12
	v_lshrrev_b32_e32 v13, 16, v55
	v_mul_f16_e32 v73, 0xbbb2, v35
	v_pk_fma_f16 v62, 0x3836bbb2, v47, v34 op_sel:[0,0,1] op_sel_hi:[1,1,0]
	v_add_f16_e32 v11, v14, v11
	v_pk_mul_f16 v122, 0xb8d2b461, v54
	v_fmamk_f16 v14, v54, 0x3b76, v82
	v_pk_add_f16 v64, v4, v22
	v_mul_f16_e32 v76, 0xb836, v120
	v_fmamk_f16 v68, v54, 0xbacd, v86
	v_add_f16_e32 v12, v13, v12
	v_lshrrev_b32_e32 v13, 16, v61
	v_pk_add_f16 v69, v17, v18 neg_lo:[0,1] neg_hi:[0,1]
	v_mul_f16_e32 v110, 0xba62, v35
	v_pk_fma_f16 v77, 0x3bb2ba62, v53, v122 op_sel:[0,0,1] op_sel_hi:[1,1,0]
	v_add_f16_e32 v10, v14, v10
	v_fmamk_f16 v14, v64, 0xbacd, v76
	v_add_f16_e32 v11, v68, v11
	v_pk_mul_f16 v125, 0xbacd3722, v64
	v_add_f16_e32 v12, v13, v12
	v_lshrrev_b32_e32 v13, 16, v62
	v_mul_f16_e32 v83, 0xbbf7, v120
	v_pk_add_f16 v68, v18, v17
	v_lshrrev_b32_e32 v127, 16, v69
	v_fmamk_f16 v90, v30, 0xb461, v73
	v_mul_f16_e32 v97, 0x3836, v36
	v_fmamk_f16 v91, v30, 0xb8d2, v110
	v_mul_f16_e32 v112, 0x3bb2, v36
	v_add_f16_e32 v9, v14, v9
	v_pk_fma_f16 v78, 0x3b29b836, v57, v125 op_sel:[0,0,1] op_sel_hi:[1,1,0]
	v_add_f16_e32 v12, v13, v12
	v_lshrrev_b32_e32 v13, 16, v77
	v_fmamk_f16 v14, v64, 0x2de8, v83
	v_pk_mul_f16 v177, 0xbbdd3b76, v68
	v_mul_f16_e32 v87, 0x3a62, v120
	v_mul_f16_e32 v79, 0xb1e1, v127
	v_add_f16_e32 v90, v90, v6
	v_fmamk_f16 v92, v85, 0xbacd, v97
	v_add_f16_e32 v91, v91, v6
	v_fmamk_f16 v93, v85, 0xb461, v112
	v_mul_f16_e32 v98, 0x3964, v37
	v_mul_f16_e32 v114, 0xb5c8, v37
	v_add_f16_e32 v12, v13, v12
	v_lshrrev_b32_e32 v13, 16, v78
	v_pk_fma_f16 v80, 0x35c8b1e1, v69, v177 op_sel:[0,0,1] op_sel_hi:[1,1,0]
	v_add_f16_e32 v14, v14, v10
	v_fmamk_f16 v10, v64, 0xb8d2, v87
	v_fmamk_f16 v89, v68, 0xbbdd, v79
	v_add_f16_e32 v90, v92, v90
	v_add_f16_e32 v91, v93, v91
	v_fmamk_f16 v92, v43, 0x39e9, v98
	v_fmamk_f16 v94, v43, 0x3b76, v114
	v_mul_f16_e32 v93, 0xbb29, v38
	v_mul_f16_e32 v115, 0xb836, v38
	v_add_f16_e32 v12, v13, v12
	v_lshrrev_b32_e32 v13, 16, v80
	v_add_f16_e32 v11, v10, v11
	v_add_f16_e32 v10, v89, v9
	;; [unrolled: 1-line block ×4, first 2 shown]
	v_fmamk_f16 v91, v44, 0x3722, v93
	v_fmamk_f16 v92, v44, 0xbacd, v115
	v_mul_f16_e32 v96, 0xb1e1, v104
	v_mul_f16_e32 v116, 0x3bf7, v104
	v_add_f16_e32 v9, v13, v12
	v_add_f16_e32 v12, v91, v89
	;; [unrolled: 1-line block ×3, first 2 shown]
	v_fmamk_f16 v89, v48, 0xbbdd, v96
	v_fmamk_f16 v90, v48, 0x2de8, v116
	v_mul_f16_e32 v100, 0x3bf7, v106
	v_mul_f16_e32 v109, 0xb964, v106
	;; [unrolled: 1-line block ×3, first 2 shown]
	v_add_f16_e32 v12, v89, v12
	v_add_f16_e32 v13, v90, v13
	v_fmamk_f16 v89, v54, 0x2de8, v100
	v_fmamk_f16 v90, v54, 0x39e9, v109
	v_mul_f16_e32 v94, 0xb5c8, v120
	v_mul_f16_e32 v88, 0x3964, v127
	v_fmamk_f16 v91, v68, 0xbacd, v84
	v_mul_f16_e32 v111, 0xb1e1, v120
	v_add_f16_e32 v89, v89, v12
	v_add_f16_e32 v13, v90, v13
	v_fmamk_f16 v90, v64, 0x3b76, v94
	v_mul_f16_e32 v99, 0xba62, v127
	v_fmamk_f16 v92, v68, 0x39e9, v88
	v_fmamk_f16 v95, v64, 0xbbdd, v111
	v_add_f16_e32 v12, v91, v14
	v_add_f16_e32 v14, v90, v89
	v_fmamk_f16 v90, v68, 0xb8d2, v99
	v_lshrrev_b32_e32 v147, 16, v30
	v_mul_f16_e32 v89, 0xb964, v39
	v_mul_f16_e32 v118, 0x3b29, v127
	v_add_f16_e32 v11, v92, v11
	v_add_f16_e32 v13, v95, v13
	;; [unrolled: 1-line block ×3, first 2 shown]
	v_lshrrev_b32_e32 v90, 16, v6
	v_fma_f16 v92, v147, 0x39e9, -v89
	v_fmamk_f16 v95, v68, 0x3722, v118
	v_mul_f16_e32 v91, 0xbbf7, v41
	v_mul_f16_e32 v107, 0xbbf7, v39
	v_mul_f16_e32 v101, 0xbb29, v39
	v_add_f16_e32 v92, v92, v90
	v_add_f16_e32 v13, v95, v13
	v_fma_f16 v105, v40, 0x2de8, -v91
	v_fma_f16 v95, v147, 0x2de8, -v107
	v_mul_f16_e64 v133, 0xbbb2, v39
	v_fma_f16 v103, v147, 0x3722, -v101
	v_mul_f16_e32 v102, 0xba62, v41
	v_add_f16_e32 v113, v105, v92
	v_mul_f16_e64 v142, 0xba62, v39
	v_add_f16_e32 v92, v95, v90
	v_fma_f16 v95, v147, 0xb461, -v133
	v_mul_f16_e64 v134, 0x3836, v41
	v_add_f16_e32 v103, v103, v90
	v_fma_f16 v108, v40, 0xb8d2, -v102
	v_mul_f16_e32 v117, 0xb1e1, v41
	v_fma_f16 v105, v147, 0xb8d2, -v142
	v_mul_f16_e64 v143, 0x3bb2, v41
	v_add_f16_e32 v95, v95, v90
	v_fma_f16 v119, v40, 0xbacd, -v134
	v_mul_f16_e64 v153, 0xb836, v35
	v_mul_f16_e64 v161, 0xb836, v39
	v_add_f16_e32 v103, v108, v103
	v_fma_f16 v108, v40, 0xbbdd, -v117
	v_add_f16_e32 v105, v105, v90
	v_fma_f16 v121, v40, 0xb461, -v143
	v_add_f16_e32 v35, v119, v95
	v_mul_f16_e64 v155, 0x3b29, v36
	v_fma_f16 v36, 0xbacd, v30, v153
	v_fma_f16 v95, v147, 0xbacd, -v161
	v_mul_f16_e64 v162, 0x3b29, v41
	v_add_f16_e32 v108, v108, v92
	v_add_f16_e32 v119, v121, v105
	v_lshrrev_b32_e32 v145, 16, v43
	v_mul_f16_e32 v92, 0xba62, v42
	v_add_f16_e32 v36, v36, v6
	v_fma_f16 v121, 0x3722, v85, v155
	v_add_f16_e32 v95, v95, v90
	v_fma_f16 v123, v40, 0x3722, -v162
	v_mul_f16_e32 v105, 0x31e1, v42
	v_fma_f16 v126, v145, 0xb8d2, -v92
	v_mul_f16_e32 v124, 0x3bb2, v42
	v_add_f16_e32 v36, v121, v36
	v_add_f16_e32 v121, v123, v95
	v_fma_f16 v95, v145, 0xbbdd, -v105
	v_mul_f16_e64 v158, 0xbbf7, v37
	v_add_f16_e32 v123, v126, v113
	v_fma_f16 v113, v145, 0xb461, -v124
	v_mul_f16_e64 v137, 0x3964, v42
	v_add_f16_e32 v37, v95, v103
	v_fma_f16 v126, 0x2de8, v43, v158
	v_lshrrev_b32_e32 v149, 16, v44
	v_mul_f16_e32 v95, 0xb1e1, v45
	v_mul_f16_e64 v151, 0xb5c8, v42
	v_add_f16_e32 v103, v113, v108
	v_fma_f16 v108, v145, 0x39e9, -v137
	v_add_f16_e32 v36, v126, v36
	v_fma_f16 v126, v149, 0xbbdd, -v95
	v_mul_f16_e64 v131, 0x35c8, v45
	v_mul_f16_e64 v140, 0xbb29, v45
	v_fma_f16 v113, v145, 0x3b76, -v151
	v_mul_f16_e64 v165, 0xbbf7, v42
	v_add_f16_e32 v35, v108, v35
	v_add_f16_e32 v123, v126, v123
	v_fma_f16 v126, v149, 0x3b76, -v131
	v_fma_f16 v128, v149, 0x3722, -v140
	v_mul_f16_e64 v156, 0xb836, v45
	v_mul_f16_e64 v164, 0x3a62, v38
	v_add_f16_e32 v108, v113, v119
	v_fma_f16 v119, v145, 0x2de8, -v165
	v_mul_f16_e32 v113, 0x3bb2, v45
	v_add_f16_e32 v38, v126, v103
	v_add_f16_e64 v35, v128, v35
	v_fma_f16 v126, v149, 0xbacd, -v156
	v_fma_f16 v128, 0xb8d2, v44, v164
	v_mul_f16_e64 v168, 0x3a62, v45
	v_lshrrev_b32_e32 v150, 16, v48
	v_mul_f16_e32 v103, 0x3836, v47
	v_add_f16_e32 v121, v119, v121
	v_fma_f16 v119, v149, 0xb461, -v113
	v_add_f16_e32 v108, v126, v108
	v_add_f16_e64 v36, v128, v36
	v_fma_f16 v126, v149, 0xb8d2, -v168
	v_fma_f16 v128, v150, 0xbacd, -v103
	v_mul_f16_e64 v136, 0xbb29, v47
	v_mul_f16_e64 v141, 0xb1e1, v47
	v_add_f16_e32 v37, v119, v37
	v_mul_f16_e32 v119, 0x3964, v47
	v_add_f16_e32 v121, v126, v121
	v_add_f16_e64 v123, v128, v123
	v_fma_f16 v126, v150, 0x3722, -v136
	v_fma_f16 v128, v150, 0xbbdd, -v141
	v_mul_f16_e64 v157, 0x3bf7, v47
	v_mul_f16_e64 v167, 0xb5c8, v104
	v_fma_f16 v129, v150, 0x39e9, -v119
	v_mul_f16_e64 v169, 0xb5c8, v47
	v_add_f16_e32 v38, v126, v38
	v_add_f16_e64 v35, v128, v35
	v_fma_f16 v126, v150, 0x2de8, -v157
	v_fma_f16 v128, 0x3b76, v48, v167
	v_lshrrev_b32_e32 v152, 16, v54
	v_mul_f16_e32 v104, 0x3bb2, v53
	v_mul_f16_e64 v130, 0xb5c8, v53
	v_add_f16_e64 v37, v129, v37
	v_fma_f16 v129, v150, 0x3b76, -v169
	v_add_f16_e32 v108, v126, v108
	v_add_f16_e64 v36, v128, v36
	v_fma_f16 v126, v152, 0xb461, -v104
	v_fma_f16 v128, v152, 0x3b76, -v130
	v_mul_f16_e64 v138, 0xb836, v53
	v_mul_f16_e64 v144, 0x3bf7, v53
	v_mul_f16_e64 v163, 0xb964, v53
	v_add_f16_e64 v121, v129, v121
	v_add_f16_e32 v123, v126, v123
	v_add_f16_e64 v37, v128, v37
	v_fma_f16 v126, v152, 0xbacd, -v138
	v_fma_f16 v128, v152, 0x2de8, -v144
	;; [unrolled: 1-line block ×3, first 2 shown]
	v_mul_f16_e64 v170, 0xb1e1, v106
	v_mul_f16_e64 v173, 0xb1e1, v53
	v_add_f16_e32 v38, v126, v38
	v_add_f16_e64 v35, v128, v35
	v_add_f16_e64 v106, v129, v108
	v_fma_f16 v126, 0xbbdd, v54, v170
	v_fma_f16 v128, v152, 0xbbdd, -v173
	v_lshrrev_b32_e32 v154, 16, v64
	v_mul_f16_e32 v108, 0x3b29, v57
	v_mul_f16_e64 v132, 0xbbf7, v57
	v_add_f16_e32 v36, v126, v36
	v_add_f16_e64 v121, v128, v121
	v_mul_f16_e64 v166, 0xb1e1, v57
	v_fma_f16 v126, v154, 0x3722, -v108
	v_fma_f16 v128, v154, 0x2de8, -v132
	v_mul_f16_e64 v174, 0x3964, v57
	v_mul_f16_e64 v148, 0xb5c8, v57
	;; [unrolled: 1-line block ×3, first 2 shown]
	v_add_f16_e64 v159, v126, v123
	v_add_f16_e64 v37, v128, v37
	v_fma_f16 v126, v154, 0xbbdd, -v166
	v_pk_fma_f16 v128, 0xb964b5c8, v39, v31 op_sel:[0,0,1] op_sel_hi:[1,1,0] neg_lo:[0,1,0] neg_hi:[0,1,0]
	v_fma_f16 v120, v154, 0x39e9, -v174
	v_mul_f16_e64 v139, 0x3a62, v57
	v_fma_f16 v123, v154, 0x3b76, -v148
	v_add_f16_e32 v106, v126, v106
	v_pk_fma_f16 v126, 0x2de839e9, v40, v16 neg_lo:[0,0,1] neg_hi:[0,0,1]
	v_add_f16_e64 v16, v128, v90
	v_add_f16_e64 v178, v120, v121
	v_pk_fma_f16 v120, 0xba62bb29, v42, v32 op_sel:[0,0,1] op_sel_hi:[1,1,0] neg_lo:[0,1,0] neg_hi:[0,1,0]
	v_fma_f16 v129, v154, 0xb8d2, -v139
	v_add_f16_e32 v35, v123, v35
	v_add_f16_e32 v16, v126, v16
	v_pk_fma_f16 v123, 0xb1e1bbf7, v45, v33 op_sel:[0,0,1] op_sel_hi:[1,1,0] neg_lo:[0,1,0] neg_hi:[0,1,0]
	v_lshrrev_b32_e32 v160, 16, v68
	v_add_f16_e64 v38, v129, v38
	v_mul_f16_e64 v129, 0x35c8, v69
	v_add_f16_e32 v16, v120, v16
	v_pk_fma_f16 v121, 0x3836bbb2, v47, v34 op_sel:[0,0,1] op_sel_hi:[1,1,0] neg_lo:[0,1,0] neg_hi:[0,1,0]
	v_fma_f16 v31, 0x39e9, v64, v171
	v_mul_f16_e64 v135, 0xb836, v69
	v_fma_f16 v32, v160, 0x3b76, -v129
	v_add_f16_e32 v16, v123, v16
	v_mul_f16_e64 v146, 0x3964, v69
	v_pk_fma_f16 v122, 0x3bb2ba62, v53, v122 op_sel:[0,0,1] op_sel_hi:[1,1,0] neg_lo:[0,1,0] neg_hi:[0,1,0]
	v_add_f16_e32 v31, v31, v36
	v_add_f16_e64 v32, v32, v159
	v_add_f16_e32 v16, v121, v16
	v_fma_f16 v33, v160, 0xbacd, -v135
	v_fma_f16 v36, v160, 0x39e9, -v146
	v_mul_f16_e64 v159, 0xba62, v69
	v_mul_f16_e64 v172, 0x3b29, v69
	;; [unrolled: 1-line block ×3, first 2 shown]
	v_pk_fma_f16 v125, 0x3b29b836, v57, v125 op_sel:[0,0,1] op_sel_hi:[1,1,0] neg_lo:[0,1,0] neg_hi:[0,1,0]
	v_add_f16_e32 v16, v122, v16
	v_mul_f16_e64 v175, 0xbbb2, v127
	v_add_f16_e32 v33, v33, v37
	v_add_f16_e32 v34, v36, v38
	v_fma_f16 v36, v160, 0xb8d2, -v159
	v_fma_f16 v37, v160, 0x3722, -v172
	;; [unrolled: 1-line block ×3, first 2 shown]
	v_pk_fma_f16 v127, 0x35c8b1e1, v69, v177 op_sel:[0,0,1] op_sel_hi:[1,1,0] neg_lo:[0,1,0] neg_hi:[0,1,0]
	v_add_f16_e32 v16, v125, v16
	v_fma_f16 v177, 0xb461, v68, v175
	v_add_f16_e32 v36, v36, v35
	v_add_f16_e32 v37, v37, v106
	v_add_f16_e64 v38, v38, v178
	v_add_f16_e32 v35, v127, v16
	v_add_f16_e64 v16, v177, v31
	v_mul_lo_u16 v31, v28, 17
	global_wb scope:SCOPE_SE
	s_barrier_signal -1
	s_barrier_wait -1
	global_inv scope:SCOPE_SE
	s_and_saveexec_b32 s0, vcc_lo
	s_cbranch_execz .LBB0_7
; %bb.6:
	v_mul_f16_e64 v181, 0xbacd, v147
	v_mul_f16_e64 v187, 0xbacd, v30
	;; [unrolled: 1-line block ×5, first 2 shown]
	v_add_f16_e64 v161, v161, v181
	v_mul_f16_e64 v181, 0x3722, v40
	v_sub_f16_e64 v153, v187, v153
	v_mul_f16_e64 v187, 0x3b76, v150
	v_mul_f16_e64 v185, 0xb461, v147
	v_add_f16_e64 v161, v161, v90
	v_add_f16_e64 v162, v162, v181
	v_mul_f16_e64 v181, 0x2de8, v145
	v_add_f16_e64 v153, v153, v6
	v_add_f16_e64 v169, v169, v187
	;; [unrolled: 3-line block ×3, first 2 shown]
	v_mul_f16_e64 v165, 0xb8d2, v149
	v_mul_f16_e64 v186, 0xb8d2, v30
	v_add_f16_e64 v142, v142, v147
	v_mul_f16_e64 v188, 0x39e9, v85
	v_add_f16_e64 v161, v162, v161
	v_add_f16_e64 v162, v168, v165
	v_mul_f16_e64 v168, 0x3722, v85
	v_add_f16_e64 v142, v142, v90
	v_mul_f16_e64 v181, 0xb8d2, v85
	v_mul_f16_e64 v191, 0xbbdd, v85
	v_add_f16_e64 v161, v162, v161
	v_sub_f16_e64 v155, v168, v155
	v_mul_f16_e64 v168, 0x2de8, v43
	v_mul_f16_e64 v162, 0xbacd, v85
	v_mul_f16_e32 v85, 0xb461, v85
	v_add_f16_e64 v161, v169, v161
	v_add_f16_e64 v153, v155, v153
	v_sub_f16_e64 v158, v168, v158
	v_mul_f16_e64 v169, 0xb8d2, v44
	v_mul_f16_e64 v155, 0xbbdd, v152
	;; [unrolled: 1-line block ×3, first 2 shown]
	v_sub_f16_e64 v110, v186, v110
	v_add_f16_e64 v153, v158, v153
	v_sub_f16_e64 v164, v169, v164
	v_mul_f16_e64 v169, 0x3b76, v48
	v_add_f16_e64 v155, v173, v155
	v_add_f16_e64 v143, v143, v168
	v_mul_f16_e64 v168, 0x3b76, v43
	v_add_f16_e64 v153, v164, v153
	v_sub_f16_e64 v164, v169, v167
	v_mul_f16_e64 v169, 0xbbdd, v54
	v_add_f16_e64 v155, v155, v161
	v_mul_f16_e64 v161, 0xb8d2, v145
	v_mul_f16_e64 v167, 0xbbdd, v145
	v_add_f16_e64 v153, v164, v153
	v_sub_f16_e64 v169, v169, v170
	v_mul_f16_e64 v164, 0xb461, v160
	v_mul_f16_e64 v170, 0xb461, v145
	v_add_f16_e64 v142, v143, v142
	v_mul_f16_e64 v143, 0xb461, v68
	v_add_f16_e64 v153, v169, v153
	;; [unrolled: 2-line block ×3, first 2 shown]
	v_mul_f16_e64 v176, 0x39e9, v145
	v_mul_f16_e64 v145, 0x3b76, v145
	v_sub_f16_e64 v143, v143, v175
	v_sub_f16_e64 v169, v169, v171
	v_sub_f16_e32 v85, v85, v112
	v_add_f16_e32 v110, v110, v6
	v_add_f16_e64 v145, v151, v145
	v_mul_f16_e64 v158, 0x39e9, v154
	v_add_f16_e64 v153, v169, v153
	v_mul_f16_e64 v169, 0xbacd, v149
	v_add_f16_e32 v85, v85, v110
	v_add_f16_e64 v142, v145, v142
	v_mul_f16_e64 v110, 0xbbdd, v154
	v_add_f16_e64 v143, v143, v153
	v_add_f16_e64 v156, v156, v169
	v_mul_f16_e64 v153, 0x2de8, v150
	v_sub_f16_e64 v114, v168, v114
	v_mul_f16_e64 v187, 0xbacd, v40
	v_add_f16_e64 v158, v174, v158
	v_add_f16_e64 v142, v156, v142
	;; [unrolled: 1-line block ×3, first 2 shown]
	v_mul_f16_e64 v157, 0x39e9, v152
	v_mul_f16_e64 v186, 0xbacd, v44
	v_add_f16_e64 v110, v166, v110
	v_add_f16_e32 v85, v114, v85
	v_add_f16_e64 v142, v153, v142
	v_add_f16_e64 v157, v163, v157
	v_mul_f16_e64 v114, 0x3722, v160
	v_add_f16_e64 v133, v133, v185
	v_mul_f16_e64 v184, 0xb461, v30
	v_add_f16_e64 v155, v158, v155
	v_add_f16_e64 v142, v157, v142
	v_sub_f16_e64 v115, v186, v115
	v_add_f16_e64 v114, v172, v114
	v_add_f16_e64 v133, v133, v90
	;; [unrolled: 1-line block ×4, first 2 shown]
	v_mul_f16_e64 v142, 0x2de8, v48
	v_mul_f16_e64 v151, 0xbbdd, v149
	;; [unrolled: 1-line block ×3, first 2 shown]
	v_add_f16_e64 v155, v164, v155
	v_mul_f16_e64 v164, 0x3b76, v149
	v_mul_f16_e64 v149, 0x3722, v149
	v_add_f16_e32 v85, v115, v85
	v_sub_f16_e64 v116, v142, v116
	v_add_f16_e32 v110, v114, v110
	v_mul_f16_e32 v114, 0x39e9, v54
	v_add_f16_e64 v133, v134, v133
	v_add_f16_e64 v137, v137, v176
	v_sub_f16_e64 v73, v184, v73
	v_mul_f16_e64 v147, 0x39e9, v43
	v_mul_f16_e64 v153, 0xbacd, v150
	;; [unrolled: 1-line block ×5, first 2 shown]
	v_add_f16_e32 v85, v116, v85
	v_sub_f16_e32 v109, v114, v109
	v_mul_f16_e64 v134, 0xbbdd, v64
	v_add_f16_e64 v133, v137, v133
	v_add_f16_e64 v140, v140, v149
	v_sub_f16_e64 v97, v162, v97
	v_add_f16_e32 v73, v73, v6
	v_mul_f16_e64 v156, 0x3722, v44
	v_mul_f16_e64 v115, 0xb461, v152
	;; [unrolled: 1-line block ×5, first 2 shown]
	v_add_f16_e32 v85, v109, v85
	v_sub_f16_e64 v111, v134, v111
	v_mul_f16_e64 v137, 0x3722, v68
	v_add_f16_e64 v133, v140, v133
	v_add_f16_e64 v141, v141, v150
	v_add_f16_e32 v73, v97, v73
	v_sub_f16_e64 v98, v147, v98
	v_mul_f16_e64 v165, 0xbbdd, v40
	v_mul_f16_e64 v186, 0xbbdd, v48
	;; [unrolled: 1-line block ×4, first 2 shown]
	v_add_f16_e32 v85, v111, v85
	v_sub_f16_e64 v118, v137, v118
	v_mul_f16_e64 v137, 0xb8d2, v154
	v_mul_f16_e64 v154, 0x3b76, v154
	v_add_f16_e64 v133, v141, v133
	v_add_f16_e64 v144, v144, v152
	;; [unrolled: 1-line block ×3, first 2 shown]
	v_add_f16_e32 v73, v98, v73
	v_sub_f16_e64 v93, v156, v93
	v_mul_f16_e32 v114, 0x2de8, v54
	v_mul_f16_e64 v150, 0x3b76, v160
	v_mul_f16_e64 v141, 0xbacd, v160
	;; [unrolled: 1-line block ×4, first 2 shown]
	v_add_f16_e32 v85, v118, v85
	v_add_f16_e64 v98, v144, v133
	v_add_f16_e64 v118, v148, v154
	v_add_f16_e32 v107, v107, v90
	v_add_f16_e64 v117, v117, v165
	v_add_f16_e32 v73, v93, v73
	v_sub_f16_e64 v93, v186, v96
	v_mul_f16_e64 v182, 0x2de8, v30
	v_mul_f16_e64 v140, 0x3b76, v64
	v_add_f16_e32 v96, v118, v98
	v_add_f16_e64 v98, v159, v160
	v_add_f16_e32 v107, v117, v107
	v_add_f16_e64 v117, v124, v170
	v_add_f16_e32 v73, v93, v73
	v_sub_f16_e32 v93, v114, v100
	v_mul_f16_e64 v147, 0xb8d2, v68
	v_add_f16_e32 v96, v98, v96
	v_sub_f16_e64 v66, v182, v66
	v_add_f16_e32 v98, v117, v107
	v_add_f16_e64 v100, v131, v164
	v_add_f16_e32 v73, v93, v73
	v_sub_f16_e64 v93, v140, v94
	v_mul_f16_e64 v158, 0xb461, v43
	v_add_f16_e32 v66, v66, v6
	v_sub_f16_e64 v67, v191, v67
	v_add_f16_e32 v94, v100, v98
	v_add_f16_e64 v98, v136, v166
	v_add_f16_e32 v73, v93, v73
	v_sub_f16_e64 v93, v147, v99
	v_mul_f16_e64 v190, 0xb8d2, v40
	v_mul_f16_e64 v169, 0x3b76, v44
	v_add_f16_e32 v66, v67, v66
	v_sub_f16_e64 v67, v158, v72
	v_add_f16_e32 v72, v98, v94
	v_add_f16_e64 v94, v138, v187
	v_add_f16_e32 v73, v93, v73
	v_add_f16_e64 v93, v101, v180
	v_mul_f16_e64 v157, 0x3722, v48
	v_add_f16_e32 v66, v67, v66
	v_sub_f16_e64 v67, v169, v74
	v_add_f16_e32 v72, v94, v72
	v_add_f16_e64 v74, v139, v137
	v_add_f16_e32 v93, v93, v90
	v_add_f16_e64 v94, v102, v190
	v_mul_f16_e64 v179, 0x3722, v30
	v_mul_f16_e32 v116, 0xbacd, v54
	v_add_f16_e32 v66, v67, v66
	v_sub_f16_e64 v67, v157, v81
	v_add_f16_e32 v72, v74, v72
	v_add_f16_e64 v74, v146, v97
	v_add_f16_e32 v81, v94, v93
	v_add_f16_e64 v93, v105, v167
	v_mul_f16_e32 v111, 0xb8d2, v64
	v_add_f16_e32 v66, v67, v66
	v_sub_f16_e32 v67, v116, v86
	v_add_f16_e32 v72, v74, v72
	v_sub_f16_e64 v58, v179, v58
	v_add_f16_e32 v74, v93, v81
	v_add_f16_e64 v81, v113, v145
	v_alignbit_b32 v106, v6, v6, 16
	v_mul_f16_e64 v174, 0xbbdd, v43
	v_mul_f16_e64 v152, 0x39e9, v68
	v_add_f16_e32 v66, v67, v66
	v_sub_f16_e32 v67, v111, v87
	v_add_f16_e32 v58, v58, v6
	v_sub_f16_e64 v60, v181, v60
	v_add_f16_e32 v74, v81, v74
	v_add_f16_e64 v81, v119, v168
	v_alignbit_b32 v75, v75, v75, 16
	v_mul_f16_e64 v189, 0x2de8, v40
	v_mul_f16_e64 v175, 0xb461, v44
	v_add_f16_e32 v66, v67, v66
	v_sub_f16_e64 v67, v152, v88
	v_add_f16_e32 v58, v60, v58
	v_sub_f16_e64 v60, v174, v65
	v_add_f16_e32 v65, v81, v74
	v_add_f16_e64 v81, v89, v178
	v_pk_add_f16 v7, v7, v106 op_sel:[0,1] op_sel_hi:[1,0]
	v_add_f16_e32 v66, v67, v66
	v_add_f16_e32 v58, v60, v58
	v_sub_f16_e64 v60, v175, v70
	v_add_f16_e32 v67, v81, v90
	v_add_f16_e64 v70, v91, v189
	v_pk_add_f16 v7, v75, v7
	v_mul_f16_e64 v177, 0x3b76, v30
	v_mul_f16_e64 v173, 0x3722, v43
	v_sub_f16_e64 v50, v188, v50
	v_add_f16_e32 v67, v70, v67
	v_add_f16_e64 v70, v92, v161
	v_pk_add_f16 v7, v15, v7
	v_sub_f16_e64 v51, v177, v51
	v_mul_f16_e64 v171, 0x2de8, v44
	v_mul_f16_e32 v112, 0xb461, v48
	v_add_f16_e32 v67, v70, v67
	v_add_f16_e64 v70, v95, v151
	v_pk_add_f16 v7, v19, v7
	v_add_f16_e64 v19, v103, v153
	v_add_f16_e32 v6, v51, v6
	v_mul_f16_e64 v172, 0xb8d2, v54
	v_add_f16_e32 v67, v70, v67
	v_pk_add_f16 v7, v20, v7
	v_add_f16_e32 v20, v104, v115
	v_add_f16_e32 v6, v50, v6
	v_mul_f16_e64 v176, 0xbacd, v64
	v_add_f16_e32 v19, v19, v67
	v_pk_add_f16 v7, v21, v7
	v_mul_f16_e64 v184, 0xbbdd, v68
	v_mul_f16_e64 v163, 0x39e9, v48
	;; [unrolled: 1-line block ×3, first 2 shown]
	v_add_f16_e32 v19, v20, v19
	v_add_f16_e32 v20, v108, v109
	v_pk_add_f16 v7, v22, v7
	v_sub_f16_e64 v22, v173, v52
	v_add_f16_e32 v58, v60, v58
	v_sub_f16_e64 v60, v163, v71
	v_add_f16_e32 v19, v20, v19
	v_bfi_b32 v20, 0xffff, v46, v128
	v_pk_add_f16 v7, v17, v7
	v_bfi_b32 v46, 0xffff, v49, v126
	v_add_f16_e32 v6, v22, v6
	v_sub_f16_e64 v17, v171, v56
	v_add_f16_e64 v22, v129, v150
	v_pk_add_f16 v7, v18, v7
	v_pk_add_f16 v18, v20, v106
	v_bfi_b32 v20, 0xffff, v55, v120
	v_add_f16_e32 v6, v17, v6
	v_sub_f16_e32 v17, v112, v59
	v_pk_add_f16 v4, v4, v7
	v_pk_add_f16 v7, v46, v18
	v_bfi_b32 v18, 0xffff, v61, v123
	v_mul_f16_e64 v134, 0x2de8, v64
	v_add_f16_e32 v6, v17, v6
	v_pk_add_f16 v4, v5, v4
	v_pk_add_f16 v5, v20, v7
	v_sub_f16_e64 v17, v172, v63
	v_add_f16_e32 v7, v22, v19
	v_bfi_b32 v19, 0xffff, v62, v121
	v_pk_add_f16 v2, v2, v4
	v_pk_add_f16 v4, v18, v5
	v_add_f16_e32 v6, v17, v6
	v_bfi_b32 v17, 0xffff, v77, v122
	v_sub_f16_e64 v5, v176, v76
	v_pk_add_f16 v2, v3, v2
	v_pk_add_f16 v3, v19, v4
	v_bfi_b32 v18, 0xffff, v78, v125
	v_pk_mul_f16 v19, 0xb836, v42 op_sel_hi:[0,1]
	v_add_f16_e32 v4, v5, v6
	v_pk_add_f16 v0, v0, v2
	v_pk_add_f16 v2, v17, v3
	v_pk_mul_f16 v3, 0xb1e1, v39 op_sel_hi:[0,1]
	v_sub_f16_e64 v5, v184, v79
	v_bfi_b32 v6, 0xffff, v80, v127
	v_pk_add_f16 v0, v1, v0
	v_pk_add_f16 v1, v18, v2
	v_pk_fma_f16 v2, 0xbbdd, v30, v3 op_sel:[0,0,1] op_sel_hi:[0,1,0] neg_lo:[0,0,1] neg_hi:[0,0,1]
	v_pk_fma_f16 v3, 0xbbdd, v30, v3 op_sel:[0,0,1] op_sel_hi:[0,1,0]
	v_pk_mul_f16 v17, 0x35c8, v41 op_sel_hi:[0,1]
	v_add_f16_e32 v4, v5, v4
	v_pk_add_f16 v1, v6, v1
	v_pk_fma_f16 v20, 0xbacd, v43, v19 op_sel:[0,0,1] op_sel_hi:[0,1,0] neg_lo:[0,0,1] neg_hi:[0,0,1]
	v_bfi_b32 v6, 0xffff, v2, v3
	v_pk_fma_f16 v18, 0x3b76, v40, v17 op_sel_hi:[0,1,1] neg_lo:[0,0,1] neg_hi:[0,0,1]
	v_pk_fma_f16 v17, 0x3b76, v40, v17 op_sel_hi:[0,1,1]
	v_alignbit_b32 v7, v7, v1, 16
	v_pack_b32_f16 v1, v4, v1
	v_pk_add_f16 v4, v6, v106 op_sel:[0,1] op_sel_hi:[1,0]
	v_pk_fma_f16 v19, 0xbacd, v43, v19 op_sel:[0,0,1] op_sel_hi:[0,1,0]
	v_alignbit_b32 v6, v17, v18, 16
	v_pk_mul_f16 v22, 0x3964, v45 op_sel_hi:[0,1]
	v_bfi_b32 v2, 0xffff, v3, v2
	v_add_f16_e64 v74, v130, v185
	v_add_f16_e32 v58, v60, v58
	v_sub_f16_e64 v60, v142, v82
	v_pk_add_f16 v4, v6, v4
	v_bfi_b32 v3, 0xffff, v20, v19
	v_pk_fma_f16 v6, 0x39e9, v44, v22 op_sel:[0,0,1] op_sel_hi:[0,1,0] neg_lo:[0,0,1] neg_hi:[0,0,1]
	v_pk_fma_f16 v22, 0x39e9, v44, v22 op_sel:[0,0,1] op_sel_hi:[0,1,0]
	v_pk_mul_f16 v30, 0xba62, v47 op_sel_hi:[0,1]
	v_pk_add_f16 v2, v2, v106 op_sel:[0,1] op_sel_hi:[1,0]
	v_alignbit_b32 v17, v18, v17, 16
	v_mul_f16_e64 v162, 0xbacd, v68
	v_add_f16_e32 v65, v74, v65
	v_add_f16_e64 v74, v132, v149
	v_add_f16_e32 v58, v60, v58
	v_sub_f16_e64 v60, v134, v83
	v_pk_add_f16 v3, v3, v4
	v_bfi_b32 v4, 0xffff, v6, v22
	v_pk_fma_f16 v18, 0xb8d2, v48, v30 op_sel:[0,0,1] op_sel_hi:[0,1,0] neg_lo:[0,0,1] neg_hi:[0,0,1]
	v_pk_fma_f16 v30, 0xb8d2, v48, v30 op_sel:[0,0,1] op_sel_hi:[0,1,0]
	v_pk_add_f16 v2, v17, v2
	v_bfi_b32 v17, 0xffff, v19, v20
	v_add_f16_e32 v65, v74, v65
	v_add_f16_e64 v15, v135, v141
	v_add_f16_e32 v58, v60, v58
	v_sub_f16_e64 v21, v162, v84
	v_pk_mul_f16 v19, 0x3b29, v53 op_sel_hi:[0,1]
	v_pk_add_f16 v3, v4, v3
	v_bfi_b32 v4, 0xffff, v18, v30
	v_pk_add_f16 v2, v17, v2
	v_bfi_b32 v6, 0xffff, v22, v6
	v_add_f16_e32 v15, v15, v65
	v_add_f16_e32 v21, v21, v58
	v_pk_fma_f16 v17, 0x3722, v54, v19 op_sel:[0,0,1] op_sel_hi:[0,1,0] neg_lo:[0,0,1] neg_hi:[0,0,1]
	v_pk_fma_f16 v19, 0x3722, v54, v19 op_sel:[0,0,1] op_sel_hi:[0,1,0]
	v_pk_mul_f16 v20, 0xbbb2, v57 op_sel_hi:[0,1]
	v_pk_add_f16 v3, v4, v3
	v_pk_add_f16 v2, v6, v2
	v_bfi_b32 v4, 0xffff, v30, v18
	v_pack_b32_f16 v15, v21, v15
	v_bfi_b32 v6, 0xffff, v17, v19
	v_pk_fma_f16 v18, 0xb461, v64, v20 op_sel:[0,0,1] op_sel_hi:[0,1,0] neg_lo:[0,0,1] neg_hi:[0,0,1]
	v_pk_fma_f16 v20, 0xb461, v64, v20 op_sel:[0,0,1] op_sel_hi:[0,1,0]
	v_pk_mul_f16 v21, 0x3bf7, v69 op_sel_hi:[0,1]
	v_pk_add_f16 v2, v4, v2
	v_bfi_b32 v4, 0xffff, v19, v17
	v_and_b32_e32 v5, 0xffff, v31
	v_pk_add_f16 v3, v6, v3
	v_bfi_b32 v6, 0xffff, v18, v20
	v_pk_fma_f16 v17, 0x2de8, v68, v21 op_sel:[0,0,1] op_sel_hi:[0,1,0] neg_lo:[0,0,1] neg_hi:[0,0,1]
	v_pk_fma_f16 v19, 0x2de8, v68, v21 op_sel:[0,0,1] op_sel_hi:[0,1,0]
	v_pk_add_f16 v2, v4, v2
	v_bfi_b32 v4, 0xffff, v20, v18
	v_add_lshl_u32 v5, v23, v5, 2
	v_pk_add_f16 v0, v24, v0
	v_pk_add_f16 v3, v6, v3
	v_bfi_b32 v6, 0xffff, v17, v19
	v_pk_add_f16 v2, v4, v2
	v_bfi_b32 v4, 0xffff, v19, v17
	v_pack_b32_f16 v24, v66, v72
	v_pack_b32_f16 v18, v85, v110
	;; [unrolled: 1-line block ×3, first 2 shown]
	ds_store_b32 v5, v0
	ds_store_2addr_b32 v5, v1, v7 offset0:1 offset1:2
	ds_store_2addr_b32 v5, v15, v24 offset0:3 offset1:4
	;; [unrolled: 1-line block ×3, first 2 shown]
	v_pk_add_f16 v0, v6, v3
	v_pack_b32_f16 v1, v143, v155
	v_pk_add_f16 v2, v4, v2
	v_perm_b32 v3, v38, v16, 0x5040100
	v_perm_b32 v4, v36, v14, 0x5040100
	;; [unrolled: 1-line block ×7, first 2 shown]
	ds_store_2addr_b32 v5, v1, v0 offset0:7 offset1:8
	ds_store_2addr_b32 v5, v2, v3 offset0:9 offset1:10
	;; [unrolled: 1-line block ×5, first 2 shown]
.LBB0_7:
	s_wait_alu 0xfffe
	s_or_b32 exec_lo, exec_lo, s0
	v_add_co_u32 v0, s0, 0xffffffef, v28
	s_wait_alu 0xf1ff
	v_add_co_ci_u32_e64 v1, null, 0, -1, s0
	v_add_nc_u16 v3, v28, 34
	v_cmp_gt_u16_e64 s0, 17, v28
	v_add_nc_u16 v4, v28, 0x44
	v_add_nc_u16 v5, v28, 0x66
	;; [unrolled: 1-line block ×3, first 2 shown]
	v_and_b32_e32 v2, 0xff, v3
	s_wait_alu 0xf1ff
	v_cndmask_b32_e64 v1, v1, 0, s0
	v_cndmask_b32_e64 v0, v0, v28, s0
	v_and_b32_e32 v7, 0xff, v4
	v_and_b32_e32 v15, 0xff, v5
	;; [unrolled: 1-line block ×3, first 2 shown]
	v_mul_lo_u16 v18, 0xf1, v2
	v_lshlrev_b64_e32 v[1:2], 2, v[0:1]
	v_mul_lo_u16 v7, 0xf1, v7
	v_mul_lo_u16 v15, 0xf1, v15
	;; [unrolled: 1-line block ×3, first 2 shown]
	v_lshrrev_b16 v24, 12, v18
	s_load_b128 s[4:7], s[4:5], 0x0
	v_add_co_u32 v1, s0, s2, v1
	v_lshrrev_b16 v7, 12, v7
	v_lshrrev_b16 v15, 12, v15
	s_wait_alu 0xf1ff
	v_add_co_ci_u32_e64 v2, s0, s3, v2, s0
	v_lshrrev_b16 v30, 12, v17
	v_mul_lo_u16 v17, v24, 17
	v_mul_lo_u16 v18, v7, 17
	global_wb scope:SCOPE_SE
	s_wait_dscnt 0x0
	s_wait_kmcnt 0x0
	s_barrier_signal -1
	s_barrier_wait -1
	global_inv scope:SCOPE_SE
	v_mul_lo_u16 v19, v15, 17
	global_load_b32 v42, v[1:2], off
	v_mul_lo_u16 v20, v30, 17
	v_sub_nc_u16 v40, v3, v17
	v_sub_nc_u16 v1, v4, v18
	;; [unrolled: 1-line block ×3, first 2 shown]
	v_add_lshl_u32 v39, v23, v28, 2
	v_sub_nc_u16 v3, v6, v20
	v_and_b32_e32 v4, 0xff, v40
	v_and_b32_e32 v47, 0xff, v1
	;; [unrolled: 1-line block ×3, first 2 shown]
	v_cmp_lt_u16_e64 s0, 16, v28
	v_and_b32_e32 v49, 0xff, v3
	v_lshlrev_b32_e32 v1, 2, v4
	v_lshlrev_b32_e32 v2, 2, v47
	;; [unrolled: 1-line block ×3, first 2 shown]
	s_wait_alu 0xf1ff
	v_cndmask_b32_e64 v19, 0, 34, s0
	v_lshlrev_b32_e32 v4, 2, v49
	s_clause 0x3
	global_load_b32 v45, v1, s[2:3]
	global_load_b32 v44, v2, s[2:3]
	;; [unrolled: 1-line block ×4, first 2 shown]
	ds_load_2addr_b32 v[1:2], v39 offset1:34
	ds_load_2addr_b32 v[3:4], v39 offset0:136 offset1:170
	ds_load_2addr_b32 v[5:6], v39 offset0:204 offset1:238
	;; [unrolled: 1-line block ×3, first 2 shown]
	v_add_nc_u32_e32 v0, v0, v19
	v_add_nc_u32_e32 v57, 0x400, v39
	v_mad_u16 v24, v24, 34, v40
	v_mad_co_u64_u32 v[21:22], null, v28, 36, s[2:3]
	s_delay_alu instid0(VALU_DEP_4)
	v_add_lshl_u32 v46, v23, v0, 2
	v_and_b32_e32 v0, 0xffff, v7
	ds_load_2addr_b32 v[19:20], v57 offset0:16 offset1:50
	v_and_b32_e32 v7, 0xffff, v15
	v_and_b32_e32 v15, 0xffff, v30
	;; [unrolled: 1-line block ×3, first 2 shown]
	v_mul_u32_u24_e32 v0, 34, v0
	global_wb scope:SCOPE_SE
	s_wait_loadcnt_dscnt 0x0
	v_mul_u32_u24_e32 v7, 34, v7
	v_mul_u32_u24_e32 v15, 34, v15
	s_barrier_signal -1
	v_add_nc_u32_e32 v0, v0, v47
	v_lshrrev_b32_e32 v50, 16, v4
	v_lshrrev_b32_e32 v30, 16, v1
	;; [unrolled: 1-line block ×3, first 2 shown]
	v_add_nc_u32_e32 v7, v7, v48
	v_add_nc_u32_e32 v15, v15, v49
	v_add_lshl_u32 v49, v23, v0, 2
	v_lshrrev_b32_e32 v61, 16, v6
	v_add_lshl_u32 v48, v23, v24, 2
	v_lshrrev_b32_e32 v58, 16, v2
	;; [unrolled: 2-line block ×3, first 2 shown]
	v_lshrrev_b32_e32 v64, 16, v20
	v_lshrrev_b32_e32 v60, 16, v17
	;; [unrolled: 1-line block ×4, first 2 shown]
	s_barrier_wait -1
	global_inv scope:SCOPE_SE
	v_lshrrev_b32_e32 v52, 16, v42
	s_delay_alu instid0(VALU_DEP_1) | instskip(SKIP_1) | instid1(VALU_DEP_2)
	v_mul_f16_e32 v47, v50, v52
	v_mul_f16_e32 v53, v4, v52
	v_fma_f16 v4, v4, v42, -v47
	s_delay_alu instid0(VALU_DEP_2) | instskip(SKIP_1) | instid1(VALU_DEP_3)
	v_fmac_f16_e32 v53, v50, v42
	v_add_lshl_u32 v50, v23, v7, 2
	v_sub_f16_e32 v0, v1, v4
	s_delay_alu instid0(VALU_DEP_3)
	v_sub_f16_e32 v4, v30, v53
	v_lshrrev_b32_e32 v55, 16, v45
	v_lshrrev_b32_e32 v56, 16, v44
	;; [unrolled: 1-line block ×4, first 2 shown]
	v_fma_f16 v1, v1, 2.0, -v0
	v_fma_f16 v7, v30, 2.0, -v4
	v_pack_b32_f16 v0, v0, v4
	v_mul_f16_e32 v4, v59, v55
	v_mul_f16_e32 v15, v5, v55
	;; [unrolled: 1-line block ×8, first 2 shown]
	v_fma_f16 v4, v5, v45, -v4
	v_fmac_f16_e32 v15, v59, v45
	v_fma_f16 v5, v6, v44, -v23
	v_fmac_f16_e32 v24, v61, v44
	;; [unrolled: 2-line block ×3, first 2 shown]
	v_pack_b32_f16 v1, v1, v7
	v_fma_f16 v7, v20, v41, -v65
	v_fmac_f16_e32 v66, v64, v41
	v_sub_f16_e32 v4, v2, v4
	v_sub_f16_e32 v15, v58, v15
	;; [unrolled: 1-line block ×8, first 2 shown]
	v_fma_f16 v2, v2, 2.0, -v4
	v_fma_f16 v24, v58, 2.0, -v15
	;; [unrolled: 1-line block ×8, first 2 shown]
	v_pack_b32_f16 v4, v4, v15
	v_pack_b32_f16 v2, v2, v24
	;; [unrolled: 1-line block ×8, first 2 shown]
	ds_store_2addr_b32 v46, v1, v0 offset1:17
	ds_store_2addr_b32 v48, v2, v4 offset1:17
	;; [unrolled: 1-line block ×5, first 2 shown]
	global_wb scope:SCOPE_SE
	s_wait_dscnt 0x0
	s_barrier_signal -1
	s_barrier_wait -1
	global_inv scope:SCOPE_SE
	s_clause 0x2
	global_load_b128 v[4:7], v[21:22], off offset:68
	global_load_b128 v[0:3], v[21:22], off offset:84
	global_load_b32 v47, v[21:22], off offset:100
	ds_load_2addr_b32 v[22:23], v39 offset1:34
	ds_load_2addr_b32 v[17:18], v39 offset0:68 offset1:102
	ds_load_2addr_b32 v[19:20], v39 offset0:136 offset1:170
	;; [unrolled: 1-line block ×4, first 2 shown]
	v_lshl_add_u32 v40, v28, 2, v29
	v_lshl_add_u32 v30, v28, 2, v29
	s_delay_alu instid0(VALU_DEP_1)
	v_add_nc_u32_e32 v77, 0x200, v30
	s_wait_dscnt 0x4
	v_lshrrev_b32_e32 v15, 16, v23
	s_wait_dscnt 0x3
	v_lshrrev_b32_e32 v21, 16, v17
	v_lshrrev_b32_e32 v24, 16, v18
	s_wait_dscnt 0x2
	v_lshrrev_b32_e32 v71, 16, v19
	v_lshrrev_b32_e32 v72, 16, v20
	s_wait_dscnt 0x1
	v_lshrrev_b32_e32 v73, 16, v66
	v_lshrrev_b32_e32 v74, 16, v67
	s_wait_dscnt 0x0
	v_lshrrev_b32_e32 v75, 16, v68
	v_lshrrev_b32_e32 v76, 16, v69
	v_lshrrev_b32_e32 v70, 16, v22
	s_wait_loadcnt 0x2
	v_lshrrev_b32_e32 v65, 16, v4
	v_lshrrev_b32_e32 v64, 16, v5
	;; [unrolled: 1-line block ×4, first 2 shown]
	s_wait_loadcnt 0x1
	v_lshrrev_b32_e32 v61, 16, v0
	v_lshrrev_b32_e32 v60, 16, v1
	;; [unrolled: 1-line block ×4, first 2 shown]
	s_wait_loadcnt 0x0
	v_lshrrev_b32_e32 v57, 16, v47
	v_mul_f16_e32 v78, v15, v65
	v_mul_f16_e32 v79, v23, v65
	;; [unrolled: 1-line block ×18, first 2 shown]
	v_fma_f16 v23, v23, v4, -v78
	v_fmac_f16_e32 v79, v15, v4
	v_fma_f16 v15, v17, v5, -v80
	v_fmac_f16_e32 v81, v21, v5
	;; [unrolled: 2-line block ×9, first 2 shown]
	v_add_f16_e32 v67, v22, v15
	v_add_f16_e32 v68, v18, v20
	v_sub_f16_e32 v69, v81, v93
	v_sub_f16_e32 v72, v15, v18
	;; [unrolled: 1-line block ×3, first 2 shown]
	v_add_f16_e32 v74, v15, v24
	v_sub_f16_e32 v75, v18, v15
	v_sub_f16_e32 v76, v20, v24
	v_add_f16_e32 v78, v70, v81
	v_sub_f16_e32 v84, v81, v85
	v_sub_f16_e32 v86, v93, v89
	;; [unrolled: 3-line block ×3, first 2 shown]
	v_add_f16_e32 v92, v23, v17
	v_add_f16_e32 v94, v19, v21
	;; [unrolled: 1-line block ×7, first 2 shown]
	v_sub_f16_e32 v82, v18, v20
	v_sub_f16_e32 v96, v83, v95
	;; [unrolled: 1-line block ×7, first 2 shown]
	v_add_f16_e32 v18, v67, v18
	v_fma_f16 v110, -0.5, v68, v22
	v_add_f16_e32 v67, v72, v73
	v_fmac_f16_e32 v22, -0.5, v74
	v_add_f16_e32 v68, v75, v76
	v_add_f16_e32 v72, v78, v85
	;; [unrolled: 1-line block ×5, first 2 shown]
	v_fma_f16 v75, -0.5, v94, v23
	v_fmac_f16_e32 v23, -0.5, v100
	v_add_f16_e32 v81, v103, v87
	v_fma_f16 v84, -0.5, v104, v79
	v_fmac_f16_e32 v79, -0.5, v108
	v_sub_f16_e32 v71, v85, v89
	v_sub_f16_e32 v99, v66, v21
	;; [unrolled: 1-line block ×7, first 2 shown]
	v_fma_f16 v78, -0.5, v80, v70
	v_fmac_f16_e32 v70, -0.5, v88
	v_add_f16_e32 v18, v18, v20
	v_add_f16_e32 v20, v72, v89
	;; [unrolled: 1-line block ×3, first 2 shown]
	v_fmamk_f16 v21, v96, 0x3b9c, v75
	v_fmamk_f16 v89, v97, 0xbb9c, v23
	v_add_f16_e32 v81, v81, v91
	v_fmamk_f16 v90, v17, 0xbb9c, v84
	v_fmamk_f16 v91, v105, 0x3b9c, v79
	v_fmac_f16_e32 v75, 0xbb9c, v96
	v_fmac_f16_e32 v23, 0x3b9c, v97
	;; [unrolled: 1-line block ×4, first 2 shown]
	v_sub_f16_e32 v15, v15, v24
	v_add_f16_e32 v76, v98, v99
	v_add_f16_e32 v80, v101, v102
	;; [unrolled: 1-line block ×4, first 2 shown]
	v_fmamk_f16 v88, v82, 0x3b9c, v70
	v_fmac_f16_e32 v70, 0xbb9c, v82
	v_fmac_f16_e32 v21, 0x38b4, v97
	;; [unrolled: 1-line block ×5, first 2 shown]
	v_fmamk_f16 v86, v69, 0x3b9c, v110
	v_fmac_f16_e32 v110, 0xbb9c, v69
	v_fmamk_f16 v87, v71, 0xbb9c, v22
	v_fmac_f16_e32 v22, 0x3b9c, v71
	v_fmac_f16_e32 v75, 0xb8b4, v97
	;; [unrolled: 1-line block ×5, first 2 shown]
	v_fmamk_f16 v72, v15, 0xbb9c, v78
	v_fmac_f16_e32 v78, 0x3b9c, v15
	v_add_f16_e32 v18, v18, v24
	v_fmac_f16_e32 v88, 0xb8b4, v15
	v_fmac_f16_e32 v70, 0x38b4, v15
	v_add_f16_e32 v15, v19, v66
	v_fmac_f16_e32 v21, 0x34f2, v76
	v_fmac_f16_e32 v89, 0x34f2, v80
	;; [unrolled: 1-line block ×8, first 2 shown]
	v_add_f16_e32 v20, v20, v93
	v_add_f16_e32 v19, v81, v95
	v_fmac_f16_e32 v75, 0x34f2, v76
	v_fmac_f16_e32 v23, 0x34f2, v80
	;; [unrolled: 1-line block ×5, first 2 shown]
	v_add_f16_e32 v66, v18, v15
	v_sub_f16_e32 v17, v18, v15
	v_mul_f16_e32 v15, 0x38b4, v90
	v_mul_f16_e32 v69, 0x3b9c, v91
	;; [unrolled: 1-line block ×4, first 2 shown]
	v_fmac_f16_e32 v78, 0x38b4, v82
	v_fmac_f16_e32 v86, 0x34f2, v67
	;; [unrolled: 1-line block ×5, first 2 shown]
	v_add_f16_e32 v67, v20, v19
	v_sub_f16_e32 v68, v20, v19
	v_mul_f16_e32 v18, 0x34f2, v23
	v_mul_f16_e32 v19, 0x3a79, v75
	;; [unrolled: 1-line block ×4, first 2 shown]
	v_fmac_f16_e32 v72, 0x34f2, v73
	v_fmac_f16_e32 v88, 0x34f2, v74
	;; [unrolled: 1-line block ×8, first 2 shown]
	v_pack_b32_f16 v73, v66, v67
	v_fma_f16 v79, v79, 0x3b9c, -v18
	v_fma_f16 v82, v84, 0x38b4, -v19
	;; [unrolled: 1-line block ×4, first 2 shown]
	v_add_f16_e32 v23, v86, v15
	v_add_f16_e32 v24, v87, v69
	;; [unrolled: 1-line block ×4, first 2 shown]
	ds_store_b32 v40, v73
	v_add_f16_e32 v19, v22, v79
	v_add_f16_e32 v20, v110, v82
	;; [unrolled: 1-line block ×4, first 2 shown]
	v_sub_f16_e32 v18, v86, v15
	v_sub_f16_e32 v72, v72, v71
	v_sub_f16_e32 v21, v87, v69
	v_sub_f16_e32 v22, v22, v79
	v_sub_f16_e32 v71, v88, v80
	v_sub_f16_e32 v70, v70, v83
	v_sub_f16_e32 v15, v110, v82
	v_sub_f16_e32 v69, v78, v84
	v_pack_b32_f16 v78, v23, v76
	v_pack_b32_f16 v79, v24, v75
	v_pack_b32_f16 v80, v19, v74
	v_pack_b32_f16 v82, v20, v73
	v_pack_b32_f16 v81, v17, v68
	v_pack_b32_f16 v83, v18, v72
	v_pack_b32_f16 v84, v21, v71
	v_pack_b32_f16 v85, v22, v70
	v_pack_b32_f16 v86, v15, v69
	ds_store_2addr_b32 v30, v78, v79 offset0:34 offset1:68
	ds_store_2addr_b32 v30, v80, v82 offset0:102 offset1:136
	;; [unrolled: 1-line block ×4, first 2 shown]
	ds_store_b32 v30, v86 offset:1224
	global_wb scope:SCOPE_SE
	s_wait_dscnt 0x0
	s_barrier_signal -1
	s_barrier_wait -1
	global_inv scope:SCOPE_SE
	s_and_saveexec_b32 s2, vcc_lo
	s_cbranch_execz .LBB0_9
; %bb.8:
	global_load_b32 v77, v26, s[12:13] offset:1360
	s_add_nc_u64 s[0:1], s[12:13], 0x550
	s_clause 0xf
	global_load_b32 v93, v26, s[0:1] offset:80
	global_load_b32 v94, v26, s[0:1] offset:160
	global_load_b32 v95, v26, s[0:1] offset:240
	global_load_b32 v96, v26, s[0:1] offset:320
	global_load_b32 v97, v26, s[0:1] offset:400
	global_load_b32 v98, v26, s[0:1] offset:480
	global_load_b32 v99, v26, s[0:1] offset:560
	global_load_b32 v100, v26, s[0:1] offset:640
	global_load_b32 v101, v26, s[0:1] offset:720
	global_load_b32 v102, v26, s[0:1] offset:800
	global_load_b32 v103, v26, s[0:1] offset:880
	global_load_b32 v104, v26, s[0:1] offset:960
	global_load_b32 v105, v26, s[0:1] offset:1040
	global_load_b32 v106, v26, s[0:1] offset:1120
	global_load_b32 v107, v26, s[0:1] offset:1200
	global_load_b32 v108, v26, s[0:1] offset:1280
	ds_load_b32 v78, v40
	v_add_nc_u32_e32 v109, 0x400, v30
	s_wait_dscnt 0x0
	v_lshrrev_b32_e32 v79, 16, v78
	s_wait_loadcnt 0xf
	v_lshrrev_b32_e32 v110, 16, v93
	s_wait_loadcnt 0xe
	;; [unrolled: 2-line block ×12, first 2 shown]
	v_lshrrev_b32_e32 v121, 16, v104
	v_lshrrev_b32_e32 v80, 16, v77
	s_wait_loadcnt 0x3
	v_lshrrev_b32_e32 v122, 16, v105
	s_wait_loadcnt 0x2
	;; [unrolled: 2-line block ×4, first 2 shown]
	v_lshrrev_b32_e32 v125, 16, v108
	v_mul_f16_e32 v81, v79, v80
	v_mul_f16_e32 v80, v78, v80
	s_delay_alu instid0(VALU_DEP_2) | instskip(NEXT) | instid1(VALU_DEP_2)
	v_fma_f16 v78, v78, v77, -v81
	v_fmac_f16_e32 v80, v79, v77
	s_delay_alu instid0(VALU_DEP_1)
	v_pack_b32_f16 v77, v78, v80
	ds_store_b32 v40, v77
	ds_load_2addr_b32 v[77:78], v30 offset0:20 offset1:40
	ds_load_2addr_b32 v[79:80], v30 offset0:60 offset1:80
	;; [unrolled: 1-line block ×8, first 2 shown]
	s_wait_dscnt 0x7
	v_lshrrev_b32_e32 v126, 16, v77
	v_lshrrev_b32_e32 v128, 16, v78
	s_wait_dscnt 0x6
	v_lshrrev_b32_e32 v130, 16, v79
	v_lshrrev_b32_e32 v132, 16, v80
	;; [unrolled: 3-line block ×5, first 2 shown]
	v_mul_f16_e32 v127, v77, v110
	v_mul_f16_e64 v129, v78, v111
	s_wait_dscnt 0x2
	v_lshrrev_b32_e32 v146, 16, v87
	v_lshrrev_b32_e32 v148, 16, v88
	s_wait_dscnt 0x1
	v_lshrrev_b32_e32 v150, 16, v89
	v_lshrrev_b32_e32 v152, 16, v90
	;; [unrolled: 3-line block ×3, first 2 shown]
	v_mul_f16_e32 v110, v126, v110
	v_mul_f16_e64 v111, v128, v111
	v_mul_f16_e64 v131, v79, v112
	;; [unrolled: 1-line block ×23, first 2 shown]
	v_fmac_f16_e32 v127, v126, v93
	v_fmac_f16_e64 v129, v128, v94
	v_mul_f16_e64 v120, v146, v120
	v_mul_f16_e64 v121, v148, v121
	;; [unrolled: 1-line block ×6, first 2 shown]
	v_fma_f16 v77, v77, v93, -v110
	v_fma_f16 v78, v78, v94, -v111
	v_fmac_f16_e64 v131, v130, v95
	v_fmac_f16_e64 v133, v132, v96
	v_fma_f16 v79, v79, v95, -v112
	v_fma_f16 v80, v80, v96, -v113
	v_fmac_f16_e64 v135, v134, v97
	v_fmac_f16_e64 v137, v136, v98
	;; [unrolled: 4-line block ×5, first 2 shown]
	v_fmac_f16_e64 v151, v150, v105
	v_fmac_f16_e64 v153, v152, v106
	;; [unrolled: 1-line block ×4, first 2 shown]
	v_fma_f16 v87, v87, v103, -v120
	v_fma_f16 v88, v88, v104, -v121
	;; [unrolled: 1-line block ×6, first 2 shown]
	v_pack_b32_f16 v77, v77, v127
	v_pack_b32_f16 v78, v78, v129
	v_pack_b32_f16 v79, v79, v131
	v_pack_b32_f16 v80, v80, v133
	v_pack_b32_f16 v81, v81, v135
	v_pack_b32_f16 v82, v82, v137
	v_pack_b32_f16 v83, v83, v139
	v_pack_b32_f16 v84, v84, v141
	v_pack_b32_f16 v85, v85, v143
	v_pack_b32_f16 v86, v86, v145
	v_pack_b32_f16 v87, v87, v147
	v_pack_b32_f16 v88, v88, v149
	v_pack_b32_f16 v89, v89, v151
	v_pack_b32_f16 v90, v90, v153
	v_pack_b32_f16 v91, v91, v155
	v_pack_b32_f16 v92, v92, v157
	ds_store_2addr_b32 v30, v77, v78 offset0:20 offset1:40
	ds_store_2addr_b32 v30, v79, v80 offset0:60 offset1:80
	;; [unrolled: 1-line block ×8, first 2 shown]
.LBB0_9:
	s_wait_alu 0xfffe
	s_or_b32 exec_lo, exec_lo, s2
	global_wb scope:SCOPE_SE
	s_wait_dscnt 0x0
	s_barrier_signal -1
	s_barrier_wait -1
	global_inv scope:SCOPE_SE
	s_and_saveexec_b32 s0, vcc_lo
	s_cbranch_execz .LBB0_11
; %bb.10:
	v_add_nc_u32_e32 v9, 0x400, v40
	ds_load_b32 v66, v40
	ds_load_2addr_b32 v[23:24], v40 offset0:20 offset1:40
	ds_load_2addr_b32 v[19:20], v40 offset0:60 offset1:80
	;; [unrolled: 1-line block ×8, first 2 shown]
	s_wait_dscnt 0x8
	v_lshrrev_b32_e32 v67, 16, v66
	s_wait_dscnt 0x7
	v_lshrrev_b32_e32 v76, 16, v23
	v_lshrrev_b32_e32 v75, 16, v24
	s_wait_dscnt 0x6
	v_lshrrev_b32_e32 v74, 16, v19
	;; [unrolled: 3-line block ×8, first 2 shown]
	v_lshrrev_b32_e32 v35, 16, v10
.LBB0_11:
	s_wait_alu 0xfffe
	s_or_b32 exec_lo, exec_lo, s0
	global_wb scope:SCOPE_SE
	s_barrier_signal -1
	s_barrier_wait -1
	global_inv scope:SCOPE_SE
	s_and_saveexec_b32 s0, vcc_lo
	s_cbranch_execz .LBB0_13
; %bb.12:
	v_sub_f16_e32 v83, v23, v10
	v_add_f16_e32 v116, v35, v76
	v_sub_f16_e32 v82, v24, v9
	v_add_f16_e32 v115, v32, v75
	v_sub_f16_e32 v77, v19, v12
	v_mul_f16_e32 v87, 0xb1e1, v83
	v_add_f16_e32 v114, v33, v74
	v_mul_f16_e32 v92, 0x35c8, v82
	v_sub_f16_e32 v78, v20, v11
	v_mul_f16_e32 v93, 0xb836, v77
	v_fmamk_f16 v80, v116, 0xbbdd, v87
	v_add_f16_e32 v111, v34, v73
	v_fmamk_f16 v81, v115, 0x3b76, v92
	v_sub_f16_e32 v79, v17, v14
	v_mul_f16_e32 v94, 0x3964, v78
	v_add_f16_e32 v84, v67, v80
	v_fmamk_f16 v85, v114, 0xbacd, v93
	v_add_f16_e32 v112, v36, v68
	v_sub_f16_e32 v80, v18, v13
	v_mul_f16_e32 v95, 0xba62, v79
	v_add_f16_e32 v84, v81, v84
	v_fmamk_f16 v86, v111, 0x39e9, v94
	v_sub_f16_e32 v119, v76, v35
	v_add_f16_e32 v113, v37, v72
	v_sub_f16_e32 v81, v21, v16
	v_add_f16_e32 v84, v85, v84
	v_add_f16_e32 v85, v10, v23
	v_mul_f16_e32 v96, 0x3b29, v80
	v_fmamk_f16 v88, v112, 0xb8d2, v95
	v_mul_f16_e32 v97, 0xb1e1, v119
	v_add_f16_e32 v84, v86, v84
	v_sub_f16_e32 v120, v75, v32
	v_add_f16_e32 v105, v38, v71
	v_add_f16_e32 v86, v9, v24
	v_fmamk_f16 v89, v113, 0x3722, v96
	v_add_f16_e32 v84, v88, v84
	v_mul_f16_e32 v98, 0xbbb2, v81
	v_fma_f16 v88, v85, 0xbbdd, -v97
	v_mul_f16_e32 v99, 0x35c8, v120
	v_sub_f16_e32 v106, v74, v33
	v_add_f16_e32 v84, v89, v84
	v_fmamk_f16 v89, v105, 0xb461, v98
	v_add_f16_e32 v90, v66, v88
	v_fma_f16 v91, v86, 0x3b76, -v99
	v_add_f16_e32 v88, v12, v19
	v_mul_f16_e32 v100, 0xb836, v106
	v_sub_f16_e32 v107, v73, v34
	v_add_f16_e32 v101, v89, v84
	v_sub_f16_e32 v84, v22, v15
	v_add_f16_e32 v90, v91, v90
	v_fma_f16 v91, v88, 0xbacd, -v100
	v_add_f16_e32 v89, v11, v20
	v_mul_f16_e32 v102, 0x3964, v107
	v_sub_f16_e32 v109, v68, v36
	v_mul_f16_e32 v103, 0x3bf7, v84
	v_add_f16_e32 v108, v69, v70
	v_add_f16_e32 v91, v91, v90
	v_fma_f16 v104, v89, 0x39e9, -v102
	v_add_f16_e32 v90, v14, v17
	v_mul_f16_e32 v118, 0xba62, v109
	v_fma_f16 v87, v116, 0xbbdd, -v87
	v_fmamk_f16 v117, v108, 0x2de8, v103
	v_sub_f16_e32 v110, v72, v37
	v_add_f16_e32 v104, v104, v91
	v_fma_f16 v121, v90, 0xb8d2, -v118
	v_add_f16_e32 v123, v67, v87
	v_fma_f16 v92, v115, 0x3b76, -v92
	v_add_f16_e32 v91, v13, v18
	v_mul_f16_e32 v122, 0x3b29, v110
	v_add_f16_e32 v87, v117, v101
	v_add_f16_e32 v101, v121, v104
	v_sub_f16_e32 v117, v71, v38
	v_add_f16_e32 v121, v92, v123
	v_fma_f16 v93, v114, 0xbacd, -v93
	v_fmac_f16_e32 v97, 0xbbdd, v85
	v_fma_f16 v104, v91, 0x3722, -v122
	v_add_f16_e32 v92, v16, v21
	v_mul_f16_e32 v123, 0xbbb2, v117
	v_add_f16_e32 v93, v93, v121
	v_fma_f16 v94, v111, 0x39e9, -v94
	v_add_f16_e32 v97, v66, v97
	v_fmac_f16_e32 v99, 0x3b76, v86
	v_sub_f16_e32 v127, v70, v69
	v_add_f16_e32 v101, v104, v101
	v_fma_f16 v104, v92, 0xb461, -v123
	v_add_f16_e32 v94, v94, v93
	v_fma_f16 v95, v112, 0xb8d2, -v95
	v_add_f16_e32 v93, v15, v22
	v_add_f16_e32 v97, v99, v97
	v_fmac_f16_e32 v100, 0xbacd, v88
	v_mul_f16_e32 v99, 0x3bf7, v127
	v_add_f16_e32 v94, v95, v94
	v_fma_f16 v95, v113, 0x3722, -v96
	v_add_f16_e32 v96, v104, v101
	v_add_f16_e32 v97, v100, v97
	v_fmac_f16_e32 v102, 0x39e9, v89
	v_fma_f16 v100, v93, 0x2de8, -v99
	v_mul_f16_e64 v137, 0xbacd, v116
	v_add_f16_e32 v95, v95, v94
	v_fma_f16 v98, v105, 0xb461, -v98
	v_add_f16_e32 v97, v102, v97
	v_fmac_f16_e32 v118, 0xb8d2, v90
	v_add_f16_e32 v94, v100, v96
	v_fma_f16 v96, 0x3836, v83, v137
	v_mul_f16_e32 v124, 0x3722, v115
	v_add_f16_e32 v95, v98, v95
	v_add_f16_e32 v97, v118, v97
	v_fmac_f16_e32 v122, 0x3722, v91
	v_fma_f16 v98, v108, 0x2de8, -v103
	v_add_f16_e32 v96, v67, v96
	v_fmamk_f16 v100, v82, 0xbb29, v124
	v_mul_f16_e32 v125, 0x2de8, v114
	v_add_f16_e32 v97, v122, v97
	v_fmac_f16_e32 v123, 0xb461, v92
	v_add_f16_e32 v95, v98, v95
	v_add_f16_e32 v96, v100, v96
	v_fmamk_f16 v98, v77, 0x3bf7, v125
	v_mul_f16_e32 v126, 0xb8d2, v111
	v_add_f16_e32 v97, v123, v97
	v_fmac_f16_e32 v99, 0x2de8, v93
	v_mul_f16_e64 v143, 0xb836, v119
	v_add_f16_e32 v98, v98, v96
	v_fmamk_f16 v100, v78, 0xba62, v126
	v_mul_f16_e64 v134, 0x3b76, v112
	v_add_f16_e32 v96, v99, v97
	v_fma_f16 v97, 0xbacd, v85, v143
	v_mul_f16_e64 v144, 0x3b29, v120
	v_add_f16_e32 v98, v100, v98
	v_fma_f16 v99, 0x35c8, v79, v134
	;; [unrolled: 3-line block ×10, first 2 shown]
	v_mul_f16_e32 v121, 0xb461, v115
	v_add_f16_e32 v99, v101, v100
	v_fma_f16 v100, 0xbbdd, v91, v159
	v_mul_f16_e64 v161, 0x3964, v117
	v_add_f16_e32 v98, v67, v98
	v_fmamk_f16 v101, v82, 0xbbb2, v121
	v_mul_f16_e32 v122, 0x3b76, v114
	v_add_f16_e32 v99, v100, v99
	v_fma_f16 v100, 0x39e9, v92, v161
	v_mul_f16_e64 v139, 0xbbb2, v127
	v_add_f16_e32 v98, v101, v98
	v_fmamk_f16 v101, v77, 0x35c8, v122
	;; [unrolled: 6-line block ×3, first 2 shown]
	v_mul_f16_e64 v129, 0x2de8, v112
	v_add_f16_e32 v98, v100, v99
	v_fma_f16 v99, 0xb8d2, v85, v158
	v_mul_f16_e64 v160, 0x3bb2, v120
	v_add_f16_e32 v100, v102, v101
	v_fma_f16 v101, 0xbbf7, v79, v129
	;; [unrolled: 3-line block ×33, first 2 shown]
	v_mul_f16_e64 v191, 0xb1e1, v120
	v_add_f16_e64 v104, v141, v118
	v_fma_f16 v118, 0x3b29, v79, v181
	v_mul_f16_e64 v182, 0xbacd, v113
	v_add_f16_e32 v103, v66, v103
	v_fma_f16 v141, 0xbbdd, v86, v191
	v_mul_f16_e64 v192, 0x3bb2, v106
	v_add_f16_e32 v104, v118, v104
	v_fma_f16 v118, 0x3836, v80, v182
	v_mul_f16_e64 v185, 0xb8d2, v105
	v_add_f16_e64 v103, v141, v103
	v_fma_f16 v141, 0xb461, v88, v192
	v_mul_f16_e64 v196, 0x35c8, v107
	v_add_f16_e32 v104, v118, v104
	v_fma_f16 v118, 0xba62, v81, v185
	v_mul_f16_e64 v180, 0x39e9, v108
	v_add_f16_e64 v103, v141, v103
	;; [unrolled: 6-line block ×5, first 2 shown]
	v_fma_f16 v141, 0xb8d2, v92, v206
	v_mul_f16_e64 v187, 0x3964, v127
	v_add_f16_e64 v104, v164, v104
	v_fma_f16 v171, 0xb1e1, v77, v163
	v_mul_f16_e64 v164, 0xb461, v111
	v_add_f16_e64 v118, v141, v118
	;; [unrolled: 3-line block ×5, first 2 shown]
	v_fma_f16 v171, 0xb964, v79, v177
	v_mul_f16_e64 v178, 0x3b76, v113
	v_add_f16_e32 v118, v66, v118
	v_fma_f16 v188, 0xb8d2, v86, v204
	v_mul_f16_e64 v193, 0x31e1, v106
	v_add_f16_e64 v141, v171, v141
	v_fma_f16 v171, 0x35c8, v80, v178
	v_mul_f16_e64 v179, 0x2de8, v105
	v_add_f16_e64 v118, v188, v118
	;; [unrolled: 3-line block ×20, first 2 shown]
	v_fma_f16 v211, 0xbbdd, v89, v189
	v_mul_f16_e32 v116, 0x3836, v109
	v_add_f16_e64 v221, v210, v205
	v_fma_f16 v205, 0x35c8, v83, v220
	v_mul_f16_e64 v207, 0x39e9, v115
	v_add_f16_e64 v210, v211, v209
	v_fma_f16 v211, 0xbacd, v90, v116
	v_mul_f16_e32 v115, 0x3bb2, v110
	v_add_f16_e64 v205, v67, v205
	v_fma_f16 v213, 0x3964, v82, v207
	v_mul_f16_e64 v209, 0x3722, v114
	v_add_f16_e64 v211, v211, v210
	v_fma_f16 v222, 0xb461, v91, v115
	v_mul_f16_e32 v114, 0x3b29, v117
	v_add_f16_e64 v205, v213, v205
	v_fma_f16 v213, 0x3b29, v77, v209
	v_mul_f16_e64 v210, 0x2de8, v111
	v_mul_f16_e32 v111, 0x3b76, v108
	v_add_f16_e64 v222, v222, v211
	v_fma_f16 v223, 0x3722, v92, v114
	v_add_f16_e64 v213, v213, v205
	v_fma_f16 v224, 0x3bf7, v78, v210
	v_mul_f16_e64 v211, 0xb461, v112
	v_mul_f16_e64 v205, 0x35c8, v127
	v_fmamk_f16 v112, v84, 0xb5c8, v111
	v_add_f16_e64 v222, v223, v222
	v_add_f16_e64 v223, v224, v213
	v_fma_f16 v224, 0x3bb2, v79, v211
	v_mul_f16_e64 v213, 0xb8d2, v113
	v_fma_f16 v113, 0x3b76, v93, v205
	v_mul_f16_e32 v119, 0xb5c8, v119
	v_add_f16_e32 v23, v23, v66
	v_add_f16_e64 v112, v112, v221
	v_add_f16_e64 v221, v224, v223
	v_fma_f16 v223, 0x3a62, v80, v213
	v_add_f16_e64 v113, v113, v222
	v_fma_f16 v222, 0x3b76, v85, v119
	v_mul_f16_e32 v120, 0xb964, v120
	v_add_f16_e32 v23, v24, v23
	v_add_f16_e32 v24, v76, v67
	v_add_f16_e64 v221, v223, v221
	v_add_f16_e64 v222, v66, v222
	v_fma_f16 v223, 0x39e9, v86, v120
	v_mul_f16_e32 v76, 0xbb29, v106
	v_add_f16_e32 v19, v19, v23
	v_add_f16_e32 v23, v75, v24
	v_mul_f16_e32 v75, 0xbbf7, v107
	v_add_f16_e64 v222, v223, v222
	v_fmamk_f16 v24, v88, 0x3722, v76
	v_add_f16_e32 v19, v20, v19
	v_add_f16_e32 v20, v74, v23
	v_mul_f16_e32 v74, 0xbbb2, v109
	v_fmac_f16_e64 v137, 0xb836, v83
	v_add_f16_e64 v23, v24, v222
	v_fmamk_f16 v24, v89, 0x2de8, v75
	v_add_f16_e32 v17, v17, v19
	v_add_f16_e32 v19, v73, v20
	v_fmac_f16_e32 v124, 0x3b29, v82
	v_fmac_f16_e32 v125, 0xbbf7, v77
	v_add_f16_e32 v23, v24, v23
	v_fmamk_f16 v24, v90, 0xb461, v74
	v_add_f16_e32 v17, v18, v17
	v_add_f16_e32 v18, v68, v19
	v_mul_f16_e32 v19, 0xba62, v110
	v_fmac_f16_e32 v126, 0x3a62, v78
	v_add_f16_e32 v23, v24, v23
	v_add_f16_e32 v17, v21, v17
	;; [unrolled: 1-line block ×3, first 2 shown]
	v_fmamk_f16 v21, v91, 0xb8d2, v19
	v_mul_f16_e32 v24, 0xb836, v117
	v_fmac_f16_e64 v134, 0xb5c8, v79
	v_add_f16_e32 v17, v22, v17
	v_add_f16_e32 v18, v71, v18
	;; [unrolled: 1-line block ×3, first 2 shown]
	v_fmamk_f16 v22, v92, 0xbacd, v24
	v_mul_f16_e32 v23, 0xb1e1, v127
	v_add_f16_e32 v15, v15, v17
	v_add_f16_e32 v17, v70, v18
	v_fmac_f16_e64 v135, 0xb1e1, v80
	v_add_f16_e32 v18, v22, v21
	v_fmamk_f16 v21, v93, 0xbbdd, v23
	v_add_f16_e32 v15, v16, v15
	v_add_f16_e32 v16, v69, v17
	v_add_f16_e64 v17, v67, v137
	v_fmac_f16_e64 v136, 0x3964, v81
	v_add_f16_e32 v18, v21, v18
	v_fma_f16 v21, v85, 0xbacd, -v143
	v_add_f16_e32 v13, v13, v15
	v_add_f16_e32 v15, v38, v16
	;; [unrolled: 1-line block ×3, first 2 shown]
	v_fmac_f16_e64 v128, 0xba62, v83
	v_add_f16_e32 v17, v66, v21
	v_fma_f16 v21, v86, 0x3722, -v144
	v_add_f16_e32 v13, v14, v13
	v_add_f16_e32 v14, v37, v15
	;; [unrolled: 1-line block ×3, first 2 shown]
	v_fmac_f16_e32 v121, 0x3bb2, v82
	v_add_f16_e32 v16, v21, v17
	v_fma_f16 v17, v88, 0x2de8, -v145
	v_add_f16_e32 v11, v11, v13
	v_add_f16_e32 v13, v36, v14
	;; [unrolled: 1-line block ×3, first 2 shown]
	v_fmac_f16_e64 v172, 0xbbb2, v83
	v_add_f16_e32 v15, v17, v16
	v_fma_f16 v16, v89, 0xb8d2, -v149
	v_add_f16_e32 v11, v12, v11
	v_add_f16_e32 v12, v34, v13
	v_add_f16_e64 v13, v134, v14
	v_fmac_f16_e64 v173, 0x3836, v82
	v_add_f16_e32 v14, v16, v15
	v_fma_f16 v15, v90, 0x3b76, -v151
	v_add_f16_e32 v9, v9, v11
	v_add_f16_e32 v11, v33, v12
	v_add_f16_e64 v12, v135, v13
	v_fma_f16 v16, v86, 0xb461, -v160
	v_add_f16_e32 v13, v15, v14
	v_fma_f16 v14, v91, 0xbbdd, -v159
	v_add_f16_e32 v9, v10, v9
	v_add_f16_e32 v10, v32, v11
	v_add_f16_e64 v11, v136, v12
	v_add_f16_e64 v15, v67, v128
	v_add_f16_e32 v12, v14, v13
	v_fma_f16 v13, v92, 0x39e9, -v161
	v_fma_f16 v14, v85, 0xb8d2, -v158
	v_fmac_f16_e64 v174, 0x3964, v77
	v_fmac_f16_e64 v175, 0xbb29, v78
	;; [unrolled: 1-line block ×3, first 2 shown]
	v_add_f16_e32 v12, v13, v12
	v_fma_f16 v13, v93, 0xb461, -v139
	v_add_f16_e32 v14, v66, v14
	v_fmac_f16_e64 v184, 0x3bf7, v80
	v_fmac_f16_e64 v165, 0xb5c8, v81
	v_fma_f16 v17, v85, 0xb461, -v167
	v_add_f16_e32 v12, v13, v12
	v_add_f16_e32 v13, v121, v15
	;; [unrolled: 1-line block ×3, first 2 shown]
	v_fma_f16 v15, v88, 0x3b76, -v146
	v_add_f16_e64 v16, v67, v172
	v_fmac_f16_e64 v186, 0xbbf7, v83
	v_fmac_f16_e64 v168, 0xb1e1, v82
	v_fma_f16 v22, v85, 0x2de8, -v190
	v_add_f16_e32 v14, v15, v14
	v_fma_f16 v15, v89, 0xbacd, -v147
	v_add_f16_e64 v16, v173, v16
	v_add_f16_e64 v21, v67, v186
	v_fmac_f16_e64 v169, 0x3bb2, v77
	v_add_f16_e32 v22, v66, v22
	v_add_f16_e32 v14, v15, v14
	v_fma_f16 v15, v90, 0x2de8, -v148
	v_add_f16_e64 v16, v174, v16
	v_add_f16_e64 v21, v168, v21
	v_fma_f16 v32, v86, 0xbbdd, -v191
	v_fmac_f16_e64 v170, 0x35c8, v78
	v_add_f16_e32 v14, v15, v14
	v_fma_f16 v15, v91, 0x39e9, -v155
	v_add_f16_e64 v16, v175, v16
	v_add_f16_e64 v21, v169, v21
	v_add_f16_e32 v22, v32, v22
	v_fma_f16 v32, v88, 0xb461, -v192
	v_add_f16_e32 v14, v15, v14
	v_fma_f16 v15, v92, 0xbbdd, -v156
	v_add_f16_e64 v16, v183, v16
	v_add_f16_e64 v21, v170, v21
	v_fmac_f16_e64 v181, 0xbb29, v79
	v_add_f16_e32 v22, v32, v22
	v_add_f16_e32 v14, v15, v14
	v_fma_f16 v15, v93, 0x3722, -v157
	v_add_f16_e64 v16, v184, v16
	v_fma_f16 v32, v89, 0x3b76, -v196
	v_add_f16_e64 v21, v181, v21
	v_fmac_f16_e64 v182, 0xb836, v80
	v_add_f16_e32 v14, v15, v14
	v_add_f16_e64 v15, v165, v16
	v_add_f16_e32 v16, v66, v17
	v_fma_f16 v17, v86, 0xbacd, -v154
	v_add_f16_e32 v22, v32, v22
	v_fma_f16 v32, v90, 0x3722, -v197
	v_add_f16_e64 v21, v182, v21
	v_fmac_f16_e64 v185, 0x3a62, v81
	v_add_f16_e32 v16, v17, v16
	v_fma_f16 v17, v88, 0x39e9, -v138
	v_add_f16_e32 v22, v32, v22
	v_fma_f16 v32, v91, 0xbacd, -v203
	v_add_f16_e64 v21, v185, v21
	v_fmac_f16_e64 v180, 0x3964, v84
	v_add_f16_e32 v16, v17, v16
	v_fma_f16 v17, v89, 0x3722, -v140
	v_add_f16_e32 v22, v32, v22
	v_fma_f16 v32, v92, 0xb8d2, -v206
	v_fmac_f16_e64 v176, 0xbb29, v83
	v_fmac_f16_e64 v162, 0xba62, v82
	v_add_f16_e32 v16, v17, v16
	v_fma_f16 v17, v90, 0xbbdd, -v142
	v_add_f16_e32 v22, v32, v22
	v_fma_f16 v32, v93, 0x39e9, -v187
	v_add_f16_e64 v33, v67, v176
	v_fma_f16 v34, v86, 0xb8d2, -v204
	v_add_f16_e32 v16, v17, v16
	v_fma_f16 v17, v91, 0x2de8, -v150
	v_fmac_f16_e64 v214, 0xb964, v83
	v_add_f16_e32 v22, v32, v22
	v_add_f16_e64 v32, v162, v33
	v_fma_f16 v33, v88, 0xbbdd, -v193
	v_add_f16_e32 v16, v17, v16
	v_fma_f16 v17, v92, 0x3b76, -v152
	v_fmac_f16_e64 v215, 0xbbf7, v82
	v_fmac_f16_e64 v216, 0xba62, v77
	;; [unrolled: 1-line block ×4, first 2 shown]
	v_add_f16_e32 v16, v17, v16
	v_fma_f16 v17, v93, 0xb8d2, -v153
	v_fmac_f16_e64 v219, 0x3bb2, v80
	v_add_f16_e32 v10, v35, v10
	v_fmac_f16_e64 v208, 0x3b29, v81
	v_fma_f16 v35, v85, 0x39e9, -v212
	v_add_f16_e32 v16, v17, v16
	v_add_f16_e64 v17, v180, v21
	v_fma_f16 v21, v85, 0x3722, -v202
	v_fmac_f16_e64 v220, 0xb5c8, v83
	v_fma_f16 v37, v85, 0x3b76, -v119
	v_fmac_f16_e64 v207, 0xb964, v82
	v_fma_f16 v38, v86, 0x39e9, -v120
	v_add_f16_e32 v21, v66, v21
	v_add_f16_e64 v36, v67, v220
	v_add_f16_e32 v37, v66, v37
	v_fmac_f16_e32 v122, 0xb5c8, v77
	v_fmac_f16_e64 v163, 0x31e1, v77
	v_add_f16_e32 v21, v34, v21
	v_add_f16_e64 v34, v67, v214
	v_add_f16_e64 v36, v207, v36
	v_fmac_f16_e64 v209, 0xbb29, v77
	v_add_f16_e32 v37, v38, v37
	v_add_f16_e32 v21, v33, v21
	v_fma_f16 v33, v89, 0xb461, -v194
	v_add_f16_e64 v34, v215, v34
	v_fma_f16 v38, v88, 0x3722, -v76
	v_add_f16_e32 v13, v122, v13
	v_fmac_f16_e32 v123, 0xb836, v78
	v_add_f16_e32 v21, v33, v21
	v_fma_f16 v33, v90, 0x39e9, -v195
	v_add_f16_e64 v34, v216, v34
	v_add_f16_e64 v32, v163, v32
	v_fmac_f16_e64 v164, 0x3bb2, v78
	v_add_f16_e64 v36, v209, v36
	v_add_f16_e32 v21, v33, v21
	v_fma_f16 v33, v91, 0x3b76, -v199
	v_add_f16_e64 v34, v217, v34
	v_fmac_f16_e64 v210, 0xbbf7, v78
	v_add_f16_e32 v37, v38, v37
	v_fma_f16 v38, v89, 0x2de8, -v75
	v_add_f16_e32 v21, v33, v21
	v_fma_f16 v33, v92, 0x2de8, -v200
	v_add_f16_e64 v34, v218, v34
	v_mul_f16_e32 v105, 0xbacd, v105
	v_add_f16_e32 v13, v123, v13
	v_fmac_f16_e64 v129, 0x3bf7, v79
	v_add_f16_e32 v21, v33, v21
	v_fma_f16 v33, v93, 0xbacd, -v201
	v_add_f16_e64 v34, v219, v34
	v_add_f16_e64 v32, v164, v32
	v_fmac_f16_e64 v177, 0x3964, v79
	v_add_f16_e64 v36, v210, v36
	v_add_f16_e32 v21, v33, v21
	v_add_f16_e64 v33, v208, v34
	v_add_f16_e32 v34, v66, v35
	v_fma_f16 v35, v86, 0x2de8, -v198
	v_fmac_f16_e64 v211, 0xbbb2, v79
	v_add_f16_e32 v37, v38, v37
	v_fma_f16 v38, v90, 0xb461, -v74
	v_fmamk_f16 v106, v81, 0x3836, v105
	v_add_f16_e32 v34, v35, v34
	v_fma_f16 v35, v88, 0xb8d2, -v188
	v_mul_f16_e32 v20, 0xbbdd, v108
	v_add_f16_e64 v13, v129, v13
	v_fmac_f16_e64 v130, 0xb964, v80
	v_add_f16_e64 v32, v177, v32
	v_add_f16_e32 v34, v35, v34
	v_fma_f16 v35, v89, 0xbbdd, -v189
	v_fmac_f16_e64 v178, 0xb5c8, v80
	v_add_f16_e64 v36, v211, v36
	v_fmac_f16_e64 v213, 0xba62, v80
	v_add_f16_e32 v37, v38, v37
	v_add_f16_e32 v34, v35, v34
	v_fma_f16 v35, v90, 0xbacd, -v116
	v_fma_f16 v19, v91, 0xb8d2, -v19
	v_add_f16_e64 v106, v106, v221
	v_fmamk_f16 v68, v84, 0x31e1, v20
	v_add_f16_e64 v13, v130, v13
	v_add_f16_e32 v34, v35, v34
	v_fma_f16 v35, v91, 0xb461, -v115
	v_fmac_f16_e64 v131, 0xb1e1, v81
	v_add_f16_e64 v32, v178, v32
	v_fmac_f16_e64 v179, 0xbbf7, v81
	v_add_f16_e64 v36, v213, v36
	v_add_f16_e32 v34, v35, v34
	v_fma_f16 v35, v92, 0x3722, -v114
	v_fmac_f16_e32 v105, 0xb836, v81
	v_add_f16_e32 v19, v19, v37
	v_fma_f16 v24, v92, 0xbacd, -v24
	v_add_f16_e32 v68, v68, v106
	v_and_b32_e32 v31, 0xffff, v31
	v_fmac_f16_e64 v133, 0xbbb2, v84
	v_add_f16_e64 v13, v131, v13
	v_fmac_f16_e64 v132, 0x3b29, v84
	v_fmac_f16_e64 v166, 0xba62, v84
	v_add_f16_e32 v34, v35, v34
	v_fma_f16 v35, v93, 0x3b76, -v205
	v_add_f16_e64 v32, v179, v32
	v_fmac_f16_e64 v171, 0xb836, v84
	v_fmac_f16_e32 v111, 0x35c8, v84
	v_add_f16_e32 v36, v105, v36
	v_fmac_f16_e32 v20, 0xb1e1, v84
	v_add_f16_e32 v19, v24, v19
	v_fma_f16 v23, v93, 0xbbdd, -v23
	v_lshl_add_u32 v24, v31, 2, v29
	v_pack_b32_f16 v18, v18, v68
	v_pack_b32_f16 v9, v9, v10
	v_add_f16_e64 v11, v133, v11
	v_add_f16_e64 v13, v132, v13
	v_pack_b32_f16 v10, v141, v118
	v_pack_b32_f16 v29, v113, v112
	v_add_f16_e64 v15, v166, v15
	v_add_f16_e32 v34, v35, v34
	v_pack_b32_f16 v31, v102, v101
	v_pack_b32_f16 v35, v104, v103
	v_add_f16_e64 v32, v171, v32
	v_add_f16_e32 v33, v111, v33
	v_add_f16_e32 v20, v20, v36
	v_pack_b32_f16 v36, v98, v97
	v_pack_b32_f16 v37, v100, v99
	v_add_f16_e32 v19, v23, v19
	ds_store_2addr_b32 v24, v9, v18 offset1:1
	ds_store_2addr_b32 v24, v29, v10 offset0:2 offset1:3
	ds_store_2addr_b32 v24, v35, v31 offset0:4 offset1:5
	ds_store_2addr_b32 v24, v37, v36 offset0:6 offset1:7
	v_pack_b32_f16 v9, v94, v87
	v_pack_b32_f16 v10, v96, v95
	;; [unrolled: 1-line block ×9, first 2 shown]
	ds_store_2addr_b32 v24, v10, v9 offset0:8 offset1:9
	ds_store_2addr_b32 v24, v11, v13 offset0:10 offset1:11
	;; [unrolled: 1-line block ×4, first 2 shown]
	ds_store_b32 v24, v17 offset:64
.LBB0_13:
	s_wait_alu 0xfffe
	s_or_b32 exec_lo, exec_lo, s0
	v_add_nc_u32_e32 v19, 0x400, v39
	global_wb scope:SCOPE_SE
	s_wait_dscnt 0x0
	s_barrier_signal -1
	s_barrier_wait -1
	global_inv scope:SCOPE_SE
	ds_load_2addr_b32 v[9:10], v39 offset1:34
	ds_load_2addr_b32 v[11:12], v39 offset0:136 offset1:170
	ds_load_2addr_b32 v[13:14], v39 offset0:204 offset1:238
	;; [unrolled: 1-line block ×4, first 2 shown]
	global_wb scope:SCOPE_SE
	s_wait_dscnt 0x0
	s_barrier_signal -1
	s_barrier_wait -1
	global_inv scope:SCOPE_SE
	v_lshrrev_b32_e32 v20, 16, v9
	v_lshrrev_b32_e32 v21, 16, v12
	v_lshrrev_b32_e32 v23, 16, v13
	v_lshrrev_b32_e32 v29, 16, v14
	v_mul_f16_e32 v33, v52, v12
	v_lshrrev_b32_e32 v36, 16, v17
	v_mul_f16_e32 v38, v52, v21
	v_mul_f16_e32 v52, v55, v23
	;; [unrolled: 1-line block ×3, first 2 shown]
	v_lshrrev_b32_e32 v37, 16, v18
	v_mul_f16_e32 v55, v56, v29
	v_mul_f16_e32 v35, v56, v14
	v_fmac_f16_e32 v38, v42, v12
	v_fmac_f16_e32 v52, v45, v13
	v_mul_f16_e32 v12, v54, v36
	v_mul_f16_e32 v13, v54, v17
	v_fma_f16 v21, v42, v21, -v33
	v_fmac_f16_e32 v55, v44, v14
	v_mul_f16_e32 v14, v53, v37
	v_mul_f16_e32 v33, v53, v18
	v_lshrrev_b32_e32 v22, 16, v10
	v_fma_f16 v23, v45, v23, -v34
	v_lshrrev_b32_e32 v24, 16, v15
	v_fma_f16 v29, v44, v29, -v35
	v_lshrrev_b32_e32 v31, 16, v16
	v_fmac_f16_e32 v12, v43, v17
	v_fma_f16 v13, v43, v36, -v13
	v_lshrrev_b32_e32 v32, 16, v11
	v_fmac_f16_e32 v14, v41, v18
	v_fma_f16 v18, v41, v37, -v33
	v_sub_f16_e32 v17, v9, v38
	v_sub_f16_e32 v21, v20, v21
	;; [unrolled: 1-line block ×10, first 2 shown]
	v_fma_f16 v9, v9, 2.0, -v17
	v_fma_f16 v20, v20, 2.0, -v21
	;; [unrolled: 1-line block ×10, first 2 shown]
	v_pack_b32_f16 v9, v9, v20
	v_pack_b32_f16 v17, v17, v21
	;; [unrolled: 1-line block ×10, first 2 shown]
	ds_store_2addr_b32 v46, v9, v17 offset1:17
	ds_store_2addr_b32 v48, v10, v20 offset1:17
	;; [unrolled: 1-line block ×5, first 2 shown]
	global_wb scope:SCOPE_SE
	s_wait_dscnt 0x0
	s_barrier_signal -1
	s_barrier_wait -1
	global_inv scope:SCOPE_SE
	ds_load_2addr_b32 v[9:10], v39 offset1:34
	ds_load_2addr_b32 v[11:12], v39 offset0:68 offset1:102
	ds_load_2addr_b32 v[13:14], v39 offset0:136 offset1:170
	;; [unrolled: 1-line block ×4, first 2 shown]
	s_wait_dscnt 0x4
	v_lshrrev_b32_e32 v20, 16, v10
	s_wait_dscnt 0x3
	v_lshrrev_b32_e32 v21, 16, v11
	v_lshrrev_b32_e32 v22, 16, v12
	s_wait_dscnt 0x2
	v_lshrrev_b32_e32 v23, 16, v13
	v_lshrrev_b32_e32 v24, 16, v14
	v_mul_f16_e32 v32, v65, v20
	v_mul_f16_e32 v35, v64, v21
	;; [unrolled: 1-line block ×3, first 2 shown]
	s_wait_dscnt 0x1
	v_lshrrev_b32_e32 v29, 16, v15
	v_lshrrev_b32_e32 v31, 16, v16
	v_fmac_f16_e32 v32, v4, v10
	v_mul_f16_e32 v10, v64, v11
	v_fmac_f16_e32 v35, v5, v11
	v_mul_f16_e32 v11, v63, v22
	v_fma_f16 v4, v4, v20, -v34
	v_mul_f16_e32 v20, v63, v12
	v_fma_f16 v5, v5, v21, -v10
	v_mul_f16_e32 v10, v62, v23
	v_mul_f16_e32 v21, v62, v13
	v_fmac_f16_e32 v11, v6, v12
	v_mul_f16_e32 v12, v61, v24
	s_wait_dscnt 0x0
	v_lshrrev_b32_e32 v33, 16, v17
	v_fma_f16 v6, v6, v22, -v20
	v_fmac_f16_e32 v10, v7, v13
	v_fma_f16 v7, v7, v23, -v21
	v_mul_f16_e32 v13, v61, v14
	v_mul_f16_e32 v20, v60, v29
	v_fmac_f16_e32 v12, v0, v14
	v_mul_f16_e32 v14, v60, v15
	v_mul_f16_e32 v21, v59, v31
	v_fma_f16 v0, v0, v24, -v13
	v_fmac_f16_e32 v20, v1, v15
	v_mul_f16_e32 v13, v58, v17
	v_fma_f16 v1, v1, v29, -v14
	v_fmac_f16_e32 v21, v2, v16
	v_mul_f16_e32 v14, v59, v16
	v_mul_f16_e32 v16, v58, v33
	v_lshrrev_b32_e32 v36, 16, v18
	v_add_f16_e32 v15, v10, v20
	v_fma_f16 v13, v3, v33, -v13
	v_add_f16_e32 v23, v9, v35
	v_fmac_f16_e32 v16, v3, v17
	v_fma_f16 v2, v2, v31, -v14
	v_lshrrev_b32_e32 v19, 16, v9
	v_mul_f16_e32 v22, v57, v36
	v_fma_f16 v15, -0.5, v15, v9
	v_add_f16_e32 v31, v35, v16
	v_sub_f16_e32 v24, v5, v13
	v_add_f16_e32 v3, v23, v10
	v_sub_f16_e32 v17, v7, v1
	v_sub_f16_e32 v23, v35, v10
	;; [unrolled: 1-line block ×3, first 2 shown]
	v_fmac_f16_e32 v9, -0.5, v31
	v_fmac_f16_e32 v22, v47, v18
	v_fmamk_f16 v14, v24, 0xbb9c, v15
	v_mul_f16_e32 v18, v57, v18
	v_add_f16_e32 v23, v23, v29
	v_fmac_f16_e32 v15, 0x3b9c, v24
	v_fmamk_f16 v29, v17, 0x3b9c, v9
	v_add_f16_e32 v34, v19, v5
	v_fmac_f16_e32 v9, 0xbb9c, v17
	v_add_f16_e32 v3, v3, v20
	v_fmac_f16_e32 v14, 0xb8b4, v17
	v_fma_f16 v18, v47, v36, -v18
	v_sub_f16_e32 v31, v10, v35
	v_sub_f16_e32 v33, v20, v16
	v_fmac_f16_e32 v15, 0x38b4, v17
	v_add_f16_e32 v36, v7, v1
	v_fmac_f16_e32 v29, 0xb8b4, v24
	v_add_f16_e32 v17, v34, v7
	;; [unrolled: 2-line block ×3, first 2 shown]
	v_add_f16_e32 v3, v3, v16
	v_add_f16_e32 v31, v31, v33
	v_fma_f16 v33, -0.5, v36, v19
	v_sub_f16_e32 v16, v35, v16
	v_add_f16_e32 v17, v17, v1
	v_sub_f16_e32 v10, v10, v20
	v_sub_f16_e32 v20, v5, v7
	;; [unrolled: 1-line block ×3, first 2 shown]
	v_fmac_f16_e32 v19, -0.5, v24
	v_sub_f16_e32 v5, v7, v5
	v_sub_f16_e32 v1, v1, v13
	v_add_f16_e32 v7, v32, v11
	v_fmac_f16_e32 v14, 0x34f2, v23
	v_fmac_f16_e32 v15, 0x34f2, v23
	v_fmamk_f16 v23, v16, 0x3b9c, v33
	v_fmac_f16_e32 v33, 0xbb9c, v16
	v_fmamk_f16 v24, v10, 0xbb9c, v19
	v_add_f16_e32 v1, v5, v1
	v_fmac_f16_e32 v19, 0x3b9c, v10
	v_add_f16_e32 v5, v7, v12
	v_fmac_f16_e32 v23, 0x38b4, v10
	v_fmac_f16_e32 v33, 0xb8b4, v10
	;; [unrolled: 1-line block ×3, first 2 shown]
	v_add_f16_e32 v7, v12, v21
	v_fmac_f16_e32 v19, 0xb8b4, v16
	v_add_f16_e32 v5, v5, v21
	v_add_f16_e32 v10, v11, v22
	;; [unrolled: 1-line block ×4, first 2 shown]
	v_fmac_f16_e32 v24, 0x34f2, v1
	v_fma_f16 v7, -0.5, v7, v32
	v_sub_f16_e32 v13, v6, v18
	v_fmac_f16_e32 v19, 0x34f2, v1
	v_add_f16_e32 v1, v5, v22
	v_sub_f16_e32 v5, v0, v2
	v_fmac_f16_e32 v32, -0.5, v10
	v_fmac_f16_e32 v29, 0x34f2, v31
	v_fmac_f16_e32 v9, 0x34f2, v31
	;; [unrolled: 1-line block ×4, first 2 shown]
	v_fmamk_f16 v10, v13, 0xbb9c, v7
	v_sub_f16_e32 v16, v11, v12
	v_sub_f16_e32 v20, v22, v21
	v_fmac_f16_e32 v7, 0x3b9c, v13
	v_fmamk_f16 v31, v5, 0x3b9c, v32
	v_fmac_f16_e32 v32, 0xbb9c, v5
	v_sub_f16_e32 v34, v12, v11
	v_sub_f16_e32 v35, v21, v22
	v_fmac_f16_e32 v10, 0xb8b4, v5
	v_add_f16_e32 v16, v16, v20
	v_fmac_f16_e32 v7, 0x38b4, v5
	v_fmac_f16_e32 v31, 0xb8b4, v13
	v_add_f16_e32 v5, v0, v2
	v_fmac_f16_e32 v32, 0x38b4, v13
	v_add_f16_e32 v13, v6, v18
	v_add_f16_e32 v20, v34, v35
	v_fmac_f16_e32 v10, 0x34f2, v16
	v_fmac_f16_e32 v7, 0x34f2, v16
	v_fma_f16 v5, -0.5, v5, v4
	v_sub_f16_e32 v11, v11, v22
	v_add_f16_e32 v16, v4, v6
	v_sub_f16_e32 v12, v12, v21
	v_fmac_f16_e32 v4, -0.5, v13
	v_fmac_f16_e32 v31, 0x34f2, v20
	v_fmac_f16_e32 v32, 0x34f2, v20
	v_fmamk_f16 v13, v11, 0x3b9c, v5
	v_sub_f16_e32 v20, v6, v0
	v_sub_f16_e32 v21, v18, v2
	v_fmamk_f16 v22, v12, 0xbb9c, v4
	v_sub_f16_e32 v6, v0, v6
	v_sub_f16_e32 v34, v2, v18
	v_fmac_f16_e32 v5, 0xbb9c, v11
	v_fmac_f16_e32 v4, 0x3b9c, v12
	;; [unrolled: 1-line block ×3, first 2 shown]
	v_add_f16_e32 v20, v20, v21
	v_fmac_f16_e32 v22, 0x38b4, v11
	v_add_f16_e32 v6, v6, v34
	v_add_f16_e32 v0, v16, v0
	v_fmac_f16_e32 v5, 0xb8b4, v12
	v_fmac_f16_e32 v4, 0xb8b4, v11
	v_fmac_f16_e32 v13, 0x34f2, v20
	v_fmac_f16_e32 v22, 0x34f2, v6
	v_add_f16_e32 v0, v0, v2
	v_fmac_f16_e32 v5, 0x34f2, v20
	v_fmac_f16_e32 v4, 0x34f2, v6
	v_mul_f16_e32 v2, 0xb8b4, v13
	v_mul_f16_e32 v6, 0xbb9c, v22
	v_add_f16_e32 v0, v0, v18
	v_mul_f16_e32 v12, 0xb8b4, v5
	v_mul_f16_e32 v13, 0x3a79, v13
	;; [unrolled: 1-line block ×6, first 2 shown]
	v_fmac_f16_e32 v2, 0x3a79, v10
	v_fmac_f16_e32 v6, 0x34f2, v31
	v_add_f16_e32 v16, v3, v1
	v_fmac_f16_e32 v12, 0xba79, v7
	v_fmac_f16_e32 v13, 0x38b4, v10
	;; [unrolled: 1-line block ×4, first 2 shown]
	v_add_f16_e32 v7, v17, v0
	v_fmac_f16_e32 v11, 0xb4f2, v32
	v_fmac_f16_e32 v4, 0x3b9c, v32
	v_add_f16_e32 v18, v14, v2
	v_add_f16_e32 v20, v29, v6
	;; [unrolled: 1-line block ×4, first 2 shown]
	v_pack_b32_f16 v7, v16, v7
	v_add_f16_e32 v21, v9, v11
	v_add_f16_e32 v34, v15, v12
	;; [unrolled: 1-line block ×4, first 2 shown]
	v_sub_f16_e32 v1, v3, v1
	v_sub_f16_e32 v2, v14, v2
	;; [unrolled: 1-line block ×10, first 2 shown]
	ds_store_b32 v40, v7
	v_pack_b32_f16 v7, v18, v10
	v_pack_b32_f16 v10, v20, v31
	;; [unrolled: 1-line block ×8, first 2 shown]
	v_add_nc_u32_e32 v4, 0x200, v30
	v_pack_b32_f16 v5, v9, v5
	ds_store_2addr_b32 v30, v7, v10 offset0:34 offset1:68
	ds_store_2addr_b32 v30, v13, v14 offset0:102 offset1:136
	;; [unrolled: 1-line block ×4, first 2 shown]
	ds_store_b32 v30, v5 offset:1224
	global_wb scope:SCOPE_SE
	s_wait_dscnt 0x0
	s_barrier_signal -1
	s_barrier_wait -1
	global_inv scope:SCOPE_SE
	s_and_b32 exec_lo, exec_lo, vcc_lo
	s_cbranch_execz .LBB0_15
; %bb.14:
	global_load_b32 v0, v26, s[12:13]
	ds_load_b32 v1, v40
	s_mov_b32 s8, 0x18181818
	s_mov_b32 s9, 0x3f681818
	v_mad_co_u64_u32 v[6:7], null, s4, v28, 0
	s_wait_dscnt 0x0
	v_lshrrev_b32_e32 v2, 16, v1
	s_wait_loadcnt 0x0
	v_lshrrev_b32_e32 v3, 16, v0
	s_delay_alu instid0(VALU_DEP_1) | instskip(SKIP_1) | instid1(VALU_DEP_2)
	v_mul_f16_e32 v4, v2, v3
	v_mul_f16_e32 v3, v1, v3
	v_fmac_f16_e32 v4, v1, v0
	s_delay_alu instid0(VALU_DEP_2) | instskip(NEXT) | instid1(VALU_DEP_2)
	v_fma_f16 v0, v0, v2, -v3
	v_cvt_f32_f16_e32 v1, v4
	s_delay_alu instid0(VALU_DEP_2) | instskip(SKIP_1) | instid1(VALU_DEP_3)
	v_cvt_f32_f16_e32 v2, v0
	v_mad_co_u64_u32 v[4:5], null, s6, v8, 0
	v_cvt_f64_f32_e32 v[0:1], v1
	s_delay_alu instid0(VALU_DEP_3) | instskip(SKIP_1) | instid1(VALU_DEP_2)
	v_cvt_f64_f32_e32 v[2:3], v2
	s_wait_alu 0xfffe
	v_mul_f64_e32 v[0:1], s[8:9], v[0:1]
	s_delay_alu instid0(VALU_DEP_2) | instskip(NEXT) | instid1(VALU_DEP_2)
	v_mul_f64_e32 v[2:3], s[8:9], v[2:3]
	v_and_or_b32 v0, 0x1ff, v1, v0
	s_delay_alu instid0(VALU_DEP_2)
	v_and_or_b32 v2, 0x1ff, v3, v2
	v_lshrrev_b32_e32 v9, 8, v1
	v_bfe_u32 v10, v1, 20, 11
	v_bfe_u32 v12, v3, 20, 11
	v_cmp_ne_u32_e32 vcc_lo, 0, v0
	v_lshrrev_b32_e32 v11, 8, v3
	v_mov_b32_e32 v0, v7
	v_sub_nc_u32_e32 v14, 0x3f1, v10
	v_sub_nc_u32_e32 v15, 0x3f1, v12
	v_cndmask_b32_e64 v13, 0, 1, vcc_lo
	v_cmp_ne_u32_e32 vcc_lo, 0, v2
	v_mad_co_u64_u32 v[7:8], null, s7, v8, v[5:6]
	v_add_nc_u32_e32 v10, 0xfffffc10, v10
	s_delay_alu instid0(VALU_DEP_4)
	v_and_or_b32 v13, 0xffe, v9, v13
	s_wait_alu 0xfffd
	v_cndmask_b32_e64 v2, 0, 1, vcc_lo
	v_add_nc_u32_e32 v12, 0xfffffc10, v12
	v_lshrrev_b32_e32 v3, 16, v3
	s_mul_u64 s[6:7], s[4:5], 0x50
	v_mov_b32_e32 v5, v7
	v_and_or_b32 v2, 0xffe, v11, v2
	v_med3_i32 v11, v14, 0, 13
	v_med3_i32 v14, v15, 0, 13
	v_or_b32_e32 v15, 0x1000, v13
	v_mad_co_u64_u32 v[8:9], null, s5, v28, v[0:1]
	v_or_b32_e32 v16, 0x1000, v2
	v_lshrrev_b32_e32 v1, 16, v1
	s_delay_alu instid0(VALU_DEP_4) | instskip(SKIP_1) | instid1(VALU_DEP_4)
	v_lshrrev_b32_e32 v0, v11, v15
	v_lshlrev_b64_e32 v[4:5], 2, v[4:5]
	v_lshrrev_b32_e32 v9, v14, v16
	v_mov_b32_e32 v7, v8
	s_delay_alu instid0(VALU_DEP_4) | instskip(NEXT) | instid1(VALU_DEP_3)
	v_lshlrev_b32_e32 v11, v11, v0
	v_lshlrev_b32_e32 v8, v14, v9
	v_lshl_or_b32 v14, v10, 12, v13
	s_delay_alu instid0(VALU_DEP_3) | instskip(SKIP_4) | instid1(VALU_DEP_2)
	v_cmp_ne_u32_e32 vcc_lo, v11, v15
	v_lshlrev_b64_e32 v[6:7], 2, v[6:7]
	s_wait_alu 0xfffd
	v_cndmask_b32_e64 v11, 0, 1, vcc_lo
	v_cmp_ne_u32_e32 vcc_lo, v8, v16
	v_or_b32_e32 v0, v0, v11
	s_wait_alu 0xfffd
	v_cndmask_b32_e64 v8, 0, 1, vcc_lo
	v_cmp_gt_i32_e32 vcc_lo, 1, v10
	v_lshl_or_b32 v11, v12, 12, v2
	s_delay_alu instid0(VALU_DEP_3)
	v_or_b32_e32 v8, v9, v8
	s_wait_alu 0xfffd
	v_cndmask_b32_e32 v0, v14, v0, vcc_lo
	v_cmp_gt_i32_e32 vcc_lo, 1, v12
	s_wait_alu 0xfffd
	v_cndmask_b32_e32 v8, v11, v8, vcc_lo
	v_cmp_ne_u32_e32 vcc_lo, 0, v13
	s_delay_alu instid0(VALU_DEP_2)
	v_and_b32_e32 v13, 7, v8
	s_wait_alu 0xfffd
	v_cndmask_b32_e64 v9, 0, 1, vcc_lo
	v_cmp_ne_u32_e32 vcc_lo, 0, v2
	v_lshrrev_b32_e32 v8, 2, v8
	v_cmp_lt_i32_e64 s1, 5, v13
	v_cmp_eq_u32_e64 s2, 3, v13
	s_wait_alu 0xfffd
	v_cndmask_b32_e64 v2, 0, 1, vcc_lo
	v_lshl_or_b32 v9, v9, 9, 0x7c00
	s_delay_alu instid0(VALU_DEP_2) | instskip(SKIP_2) | instid1(VALU_DEP_2)
	v_lshl_or_b32 v2, v2, 9, 0x7c00
	v_and_b32_e32 v11, 7, v0
	v_lshrrev_b32_e32 v0, 2, v0
	v_cmp_lt_i32_e32 vcc_lo, 5, v11
	v_cmp_eq_u32_e64 s0, 3, v11
	s_delay_alu instid0(VALU_DEP_1)
	s_or_b32 vcc_lo, s0, vcc_lo
	s_wait_alu 0xfffe
	v_add_co_ci_u32_e32 v0, vcc_lo, 0, v0, vcc_lo
	s_or_b32 vcc_lo, s2, s1
	s_wait_alu 0xfffe
	v_add_co_ci_u32_e32 v8, vcc_lo, 0, v8, vcc_lo
	v_cmp_gt_i32_e32 vcc_lo, 31, v10
	s_wait_alu 0xfffd
	v_cndmask_b32_e32 v0, 0x7c00, v0, vcc_lo
	v_cmp_gt_i32_e32 vcc_lo, 31, v12
	s_wait_alu 0xfffd
	v_cndmask_b32_e32 v8, 0x7c00, v8, vcc_lo
	v_cmp_eq_u32_e32 vcc_lo, 0x40f, v10
	s_wait_alu 0xfffd
	v_cndmask_b32_e32 v0, v0, v9, vcc_lo
	v_cmp_eq_u32_e32 vcc_lo, 0x40f, v12
	s_wait_alu 0xfffd
	v_cndmask_b32_e32 v2, v8, v2, vcc_lo
	s_delay_alu instid0(VALU_DEP_3)
	v_and_or_b32 v8, 0x8000, v1, v0
	v_add_co_u32 v0, vcc_lo, s14, v4
	s_wait_alu 0xfffd
	v_add_co_ci_u32_e32 v1, vcc_lo, s15, v5, vcc_lo
	v_and_or_b32 v4, 0x8000, v3, v2
	v_and_b32_e32 v5, 0xffff, v8
	v_add_co_u32 v2, vcc_lo, v0, v6
	s_wait_alu 0xfffd
	v_add_co_ci_u32_e32 v3, vcc_lo, v1, v7, vcc_lo
	s_delay_alu instid0(VALU_DEP_3)
	v_lshl_or_b32 v4, v4, 16, v5
	global_store_b32 v[2:3], v4, off
	global_load_b32 v6, v26, s[12:13] offset:80
	ds_load_2addr_b32 v[4:5], v30 offset0:20 offset1:40
	s_wait_dscnt 0x0
	v_lshrrev_b32_e32 v7, 16, v4
	s_wait_loadcnt 0x0
	v_lshrrev_b32_e32 v8, 16, v6
	s_delay_alu instid0(VALU_DEP_1) | instskip(SKIP_1) | instid1(VALU_DEP_2)
	v_mul_f16_e32 v9, v7, v8
	v_mul_f16_e32 v8, v4, v8
	v_fmac_f16_e32 v9, v4, v6
	s_delay_alu instid0(VALU_DEP_2) | instskip(NEXT) | instid1(VALU_DEP_2)
	v_fma_f16 v4, v6, v7, -v8
	v_cvt_f32_f16_e32 v6, v9
	s_delay_alu instid0(VALU_DEP_2) | instskip(NEXT) | instid1(VALU_DEP_2)
	v_cvt_f32_f16_e32 v4, v4
	v_cvt_f64_f32_e32 v[6:7], v6
	s_delay_alu instid0(VALU_DEP_2) | instskip(NEXT) | instid1(VALU_DEP_2)
	v_cvt_f64_f32_e32 v[8:9], v4
	v_mul_f64_e32 v[6:7], s[8:9], v[6:7]
	s_delay_alu instid0(VALU_DEP_2) | instskip(NEXT) | instid1(VALU_DEP_2)
	v_mul_f64_e32 v[8:9], s[8:9], v[8:9]
	v_and_or_b32 v4, 0x1ff, v7, v6
	s_delay_alu instid0(VALU_DEP_2)
	v_and_or_b32 v8, 0x1ff, v9, v8
	v_lshrrev_b32_e32 v6, 8, v7
	v_bfe_u32 v10, v7, 20, 11
	v_lshrrev_b32_e32 v11, 8, v9
	v_cmp_ne_u32_e32 vcc_lo, 0, v4
	v_bfe_u32 v12, v9, 20, 11
	v_lshrrev_b32_e32 v7, 16, v7
	v_sub_nc_u32_e32 v13, 0x3f1, v10
	v_add_nc_u32_e32 v10, 0xfffffc10, v10
	s_wait_alu 0xfffd
	v_cndmask_b32_e64 v4, 0, 1, vcc_lo
	v_cmp_ne_u32_e32 vcc_lo, 0, v8
	v_lshrrev_b32_e32 v9, 16, v9
	s_delay_alu instid0(VALU_DEP_3) | instskip(SKIP_4) | instid1(VALU_DEP_3)
	v_and_or_b32 v4, 0xffe, v6, v4
	s_wait_alu 0xfffd
	v_cndmask_b32_e64 v8, 0, 1, vcc_lo
	v_sub_nc_u32_e32 v6, 0x3f1, v12
	v_add_nc_u32_e32 v12, 0xfffffc10, v12
	v_and_or_b32 v8, 0xffe, v11, v8
	v_med3_i32 v11, v13, 0, 13
	v_or_b32_e32 v13, 0x1000, v4
	v_med3_i32 v6, v6, 0, 13
	s_delay_alu instid0(VALU_DEP_4) | instskip(NEXT) | instid1(VALU_DEP_3)
	v_or_b32_e32 v14, 0x1000, v8
	v_lshrrev_b32_e32 v15, v11, v13
	s_delay_alu instid0(VALU_DEP_2) | instskip(NEXT) | instid1(VALU_DEP_2)
	v_lshrrev_b32_e32 v16, v6, v14
	v_lshlrev_b32_e32 v11, v11, v15
	s_delay_alu instid0(VALU_DEP_2) | instskip(NEXT) | instid1(VALU_DEP_2)
	v_lshlrev_b32_e32 v6, v6, v16
	v_cmp_ne_u32_e32 vcc_lo, v11, v13
	v_lshl_or_b32 v13, v10, 12, v4
	s_wait_alu 0xfffd
	v_cndmask_b32_e64 v11, 0, 1, vcc_lo
	v_cmp_ne_u32_e32 vcc_lo, v6, v14
	v_lshl_or_b32 v14, v12, 12, v8
	s_delay_alu instid0(VALU_DEP_3) | instskip(SKIP_3) | instid1(VALU_DEP_2)
	v_or_b32_e32 v11, v15, v11
	s_wait_alu 0xfffd
	v_cndmask_b32_e64 v6, 0, 1, vcc_lo
	v_cmp_gt_i32_e32 vcc_lo, 1, v10
	v_or_b32_e32 v6, v16, v6
	s_wait_alu 0xfffd
	v_cndmask_b32_e32 v11, v13, v11, vcc_lo
	v_cmp_gt_i32_e32 vcc_lo, 1, v12
	s_wait_alu 0xfffd
	s_delay_alu instid0(VALU_DEP_2) | instskip(SKIP_2) | instid1(VALU_DEP_3)
	v_dual_cndmask_b32 v6, v14, v6 :: v_dual_and_b32 v13, 7, v11
	v_cmp_ne_u32_e32 vcc_lo, 0, v4
	v_lshrrev_b32_e32 v11, 2, v11
	v_cmp_eq_u32_e64 s0, 3, v13
	s_delay_alu instid0(VALU_DEP_4)
	v_and_b32_e32 v14, 7, v6
	s_wait_alu 0xfffd
	v_cndmask_b32_e64 v4, 0, 1, vcc_lo
	v_cmp_ne_u32_e32 vcc_lo, 0, v8
	v_lshrrev_b32_e32 v6, 2, v6
	v_cmp_lt_i32_e64 s1, 5, v14
	v_cmp_eq_u32_e64 s2, 3, v14
	s_wait_alu 0xfffd
	v_cndmask_b32_e64 v8, 0, 1, vcc_lo
	v_cmp_lt_i32_e32 vcc_lo, 5, v13
	v_lshl_or_b32 v4, v4, 9, 0x7c00
	s_delay_alu instid0(VALU_DEP_3)
	v_lshl_or_b32 v8, v8, 9, 0x7c00
	s_or_b32 vcc_lo, s0, vcc_lo
	s_wait_alu 0xfffe
	v_add_co_ci_u32_e32 v11, vcc_lo, 0, v11, vcc_lo
	s_or_b32 vcc_lo, s2, s1
	s_wait_alu 0xfffe
	v_add_co_ci_u32_e32 v6, vcc_lo, 0, v6, vcc_lo
	v_cmp_gt_i32_e32 vcc_lo, 31, v10
	s_wait_alu 0xfffd
	v_cndmask_b32_e32 v11, 0x7c00, v11, vcc_lo
	v_cmp_gt_i32_e32 vcc_lo, 31, v12
	s_wait_alu 0xfffd
	v_cndmask_b32_e32 v6, 0x7c00, v6, vcc_lo
	v_cmp_eq_u32_e32 vcc_lo, 0x40f, v10
	s_wait_alu 0xfffd
	v_cndmask_b32_e32 v4, v11, v4, vcc_lo
	v_cmp_eq_u32_e32 vcc_lo, 0x40f, v12
	s_delay_alu instid0(VALU_DEP_2)
	v_and_or_b32 v4, 0x8000, v7, v4
	s_wait_alu 0xfffd
	v_cndmask_b32_e32 v6, v6, v8, vcc_lo
	v_add_co_u32 v2, vcc_lo, v2, s6
	s_wait_alu 0xfffd
	v_add_co_ci_u32_e32 v3, vcc_lo, s7, v3, vcc_lo
	s_delay_alu instid0(VALU_DEP_3) | instskip(SKIP_1) | instid1(VALU_DEP_1)
	v_and_or_b32 v6, 0x8000, v9, v6
	v_and_b32_e32 v4, 0xffff, v4
	v_lshl_or_b32 v4, v6, 16, v4
	v_lshrrev_b32_e32 v6, 16, v5
	global_store_b32 v[2:3], v4, off
	global_load_b32 v4, v26, s[12:13] offset:160
	s_wait_loadcnt 0x0
	v_lshrrev_b32_e32 v7, 16, v4
	s_delay_alu instid0(VALU_DEP_1) | instskip(SKIP_1) | instid1(VALU_DEP_2)
	v_mul_f16_e32 v8, v6, v7
	v_mul_f16_e32 v7, v5, v7
	v_fmac_f16_e32 v8, v5, v4
	s_delay_alu instid0(VALU_DEP_2) | instskip(NEXT) | instid1(VALU_DEP_2)
	v_fma_f16 v4, v4, v6, -v7
	v_cvt_f32_f16_e32 v5, v8
	s_delay_alu instid0(VALU_DEP_2) | instskip(NEXT) | instid1(VALU_DEP_2)
	v_cvt_f32_f16_e32 v6, v4
	v_cvt_f64_f32_e32 v[4:5], v5
	s_delay_alu instid0(VALU_DEP_2) | instskip(NEXT) | instid1(VALU_DEP_2)
	v_cvt_f64_f32_e32 v[6:7], v6
	v_mul_f64_e32 v[4:5], s[8:9], v[4:5]
	s_delay_alu instid0(VALU_DEP_2) | instskip(NEXT) | instid1(VALU_DEP_2)
	v_mul_f64_e32 v[6:7], s[8:9], v[6:7]
	v_and_or_b32 v4, 0x1ff, v5, v4
	s_delay_alu instid0(VALU_DEP_2)
	v_and_or_b32 v6, 0x1ff, v7, v6
	v_lshrrev_b32_e32 v8, 8, v5
	v_bfe_u32 v9, v5, 20, 11
	v_lshrrev_b32_e32 v10, 8, v7
	v_cmp_ne_u32_e32 vcc_lo, 0, v4
	v_bfe_u32 v11, v7, 20, 11
	v_lshrrev_b32_e32 v5, 16, v5
	v_sub_nc_u32_e32 v12, 0x3f1, v9
	v_add_nc_u32_e32 v9, 0xfffffc10, v9
	s_wait_alu 0xfffd
	v_cndmask_b32_e64 v4, 0, 1, vcc_lo
	v_cmp_ne_u32_e32 vcc_lo, 0, v6
	v_lshrrev_b32_e32 v7, 16, v7
	s_delay_alu instid0(VALU_DEP_3) | instskip(SKIP_4) | instid1(VALU_DEP_3)
	v_and_or_b32 v4, 0xffe, v8, v4
	s_wait_alu 0xfffd
	v_cndmask_b32_e64 v6, 0, 1, vcc_lo
	v_sub_nc_u32_e32 v8, 0x3f1, v11
	v_add_nc_u32_e32 v11, 0xfffffc10, v11
	v_and_or_b32 v6, 0xffe, v10, v6
	v_med3_i32 v10, v12, 0, 13
	v_or_b32_e32 v12, 0x1000, v4
	v_med3_i32 v8, v8, 0, 13
	s_delay_alu instid0(VALU_DEP_4) | instskip(NEXT) | instid1(VALU_DEP_3)
	v_or_b32_e32 v13, 0x1000, v6
	v_lshrrev_b32_e32 v14, v10, v12
	s_delay_alu instid0(VALU_DEP_2) | instskip(NEXT) | instid1(VALU_DEP_2)
	v_lshrrev_b32_e32 v15, v8, v13
	v_lshlrev_b32_e32 v10, v10, v14
	s_delay_alu instid0(VALU_DEP_2) | instskip(NEXT) | instid1(VALU_DEP_2)
	v_lshlrev_b32_e32 v8, v8, v15
	v_cmp_ne_u32_e32 vcc_lo, v10, v12
	v_lshl_or_b32 v12, v9, 12, v4
	s_wait_alu 0xfffd
	v_cndmask_b32_e64 v10, 0, 1, vcc_lo
	v_cmp_ne_u32_e32 vcc_lo, v8, v13
	v_lshl_or_b32 v13, v11, 12, v6
	s_delay_alu instid0(VALU_DEP_3) | instskip(SKIP_3) | instid1(VALU_DEP_2)
	v_or_b32_e32 v10, v14, v10
	s_wait_alu 0xfffd
	v_cndmask_b32_e64 v8, 0, 1, vcc_lo
	v_cmp_gt_i32_e32 vcc_lo, 1, v9
	v_or_b32_e32 v8, v15, v8
	s_wait_alu 0xfffd
	v_cndmask_b32_e32 v10, v12, v10, vcc_lo
	v_cmp_gt_i32_e32 vcc_lo, 1, v11
	s_delay_alu instid0(VALU_DEP_2)
	v_and_b32_e32 v12, 7, v10
	s_wait_alu 0xfffd
	v_cndmask_b32_e32 v8, v13, v8, vcc_lo
	v_cmp_ne_u32_e32 vcc_lo, 0, v4
	v_lshrrev_b32_e32 v10, 2, v10
	v_cmp_eq_u32_e64 s0, 3, v12
	s_delay_alu instid0(VALU_DEP_4)
	v_and_b32_e32 v13, 7, v8
	s_wait_alu 0xfffd
	v_cndmask_b32_e64 v4, 0, 1, vcc_lo
	v_cmp_ne_u32_e32 vcc_lo, 0, v6
	v_lshrrev_b32_e32 v8, 2, v8
	v_cmp_lt_i32_e64 s1, 5, v13
	v_cmp_eq_u32_e64 s2, 3, v13
	s_wait_alu 0xfffd
	v_cndmask_b32_e64 v6, 0, 1, vcc_lo
	v_cmp_lt_i32_e32 vcc_lo, 5, v12
	v_lshl_or_b32 v4, v4, 9, 0x7c00
	s_delay_alu instid0(VALU_DEP_3)
	v_lshl_or_b32 v6, v6, 9, 0x7c00
	s_or_b32 vcc_lo, s0, vcc_lo
	s_wait_alu 0xfffe
	v_add_co_ci_u32_e32 v10, vcc_lo, 0, v10, vcc_lo
	s_or_b32 vcc_lo, s2, s1
	s_wait_alu 0xfffe
	v_add_co_ci_u32_e32 v8, vcc_lo, 0, v8, vcc_lo
	v_cmp_gt_i32_e32 vcc_lo, 31, v9
	s_wait_alu 0xfffd
	v_cndmask_b32_e32 v10, 0x7c00, v10, vcc_lo
	v_cmp_gt_i32_e32 vcc_lo, 31, v11
	s_wait_alu 0xfffd
	v_cndmask_b32_e32 v8, 0x7c00, v8, vcc_lo
	v_cmp_eq_u32_e32 vcc_lo, 0x40f, v9
	s_wait_alu 0xfffd
	v_cndmask_b32_e32 v4, v10, v4, vcc_lo
	v_cmp_eq_u32_e32 vcc_lo, 0x40f, v11
	s_delay_alu instid0(VALU_DEP_2)
	v_and_or_b32 v4, 0x8000, v5, v4
	s_wait_alu 0xfffd
	v_cndmask_b32_e32 v6, v8, v6, vcc_lo
	v_add_co_u32 v2, vcc_lo, v2, s6
	s_wait_alu 0xfffd
	v_add_co_ci_u32_e32 v3, vcc_lo, s7, v3, vcc_lo
	s_delay_alu instid0(VALU_DEP_3) | instskip(SKIP_1) | instid1(VALU_DEP_1)
	v_and_or_b32 v5, 0x8000, v7, v6
	v_and_b32_e32 v4, 0xffff, v4
	v_lshl_or_b32 v4, v5, 16, v4
	global_store_b32 v[2:3], v4, off
	global_load_b32 v6, v26, s[12:13] offset:240
	ds_load_2addr_b32 v[4:5], v30 offset0:60 offset1:80
	s_wait_dscnt 0x0
	v_lshrrev_b32_e32 v7, 16, v4
	s_wait_loadcnt 0x0
	v_lshrrev_b32_e32 v8, 16, v6
	s_delay_alu instid0(VALU_DEP_1) | instskip(SKIP_1) | instid1(VALU_DEP_2)
	v_mul_f16_e32 v9, v7, v8
	v_mul_f16_e32 v8, v4, v8
	v_fmac_f16_e32 v9, v4, v6
	s_delay_alu instid0(VALU_DEP_2) | instskip(NEXT) | instid1(VALU_DEP_2)
	v_fma_f16 v4, v6, v7, -v8
	v_cvt_f32_f16_e32 v6, v9
	s_delay_alu instid0(VALU_DEP_2) | instskip(NEXT) | instid1(VALU_DEP_2)
	v_cvt_f32_f16_e32 v4, v4
	v_cvt_f64_f32_e32 v[6:7], v6
	s_delay_alu instid0(VALU_DEP_2) | instskip(NEXT) | instid1(VALU_DEP_2)
	v_cvt_f64_f32_e32 v[8:9], v4
	v_mul_f64_e32 v[6:7], s[8:9], v[6:7]
	s_delay_alu instid0(VALU_DEP_2) | instskip(NEXT) | instid1(VALU_DEP_2)
	v_mul_f64_e32 v[8:9], s[8:9], v[8:9]
	v_and_or_b32 v4, 0x1ff, v7, v6
	s_delay_alu instid0(VALU_DEP_2)
	v_and_or_b32 v8, 0x1ff, v9, v8
	v_lshrrev_b32_e32 v6, 8, v7
	v_bfe_u32 v10, v7, 20, 11
	v_lshrrev_b32_e32 v11, 8, v9
	v_cmp_ne_u32_e32 vcc_lo, 0, v4
	v_bfe_u32 v12, v9, 20, 11
	v_lshrrev_b32_e32 v7, 16, v7
	v_sub_nc_u32_e32 v13, 0x3f1, v10
	v_add_nc_u32_e32 v10, 0xfffffc10, v10
	s_wait_alu 0xfffd
	v_cndmask_b32_e64 v4, 0, 1, vcc_lo
	v_cmp_ne_u32_e32 vcc_lo, 0, v8
	v_lshrrev_b32_e32 v9, 16, v9
	s_delay_alu instid0(VALU_DEP_3) | instskip(SKIP_4) | instid1(VALU_DEP_3)
	v_and_or_b32 v4, 0xffe, v6, v4
	s_wait_alu 0xfffd
	v_cndmask_b32_e64 v8, 0, 1, vcc_lo
	v_sub_nc_u32_e32 v6, 0x3f1, v12
	v_add_nc_u32_e32 v12, 0xfffffc10, v12
	v_and_or_b32 v8, 0xffe, v11, v8
	v_med3_i32 v11, v13, 0, 13
	v_or_b32_e32 v13, 0x1000, v4
	v_med3_i32 v6, v6, 0, 13
	s_delay_alu instid0(VALU_DEP_4) | instskip(NEXT) | instid1(VALU_DEP_3)
	v_or_b32_e32 v14, 0x1000, v8
	v_lshrrev_b32_e32 v15, v11, v13
	s_delay_alu instid0(VALU_DEP_2) | instskip(NEXT) | instid1(VALU_DEP_2)
	v_lshrrev_b32_e32 v16, v6, v14
	v_lshlrev_b32_e32 v11, v11, v15
	s_delay_alu instid0(VALU_DEP_2) | instskip(NEXT) | instid1(VALU_DEP_2)
	v_lshlrev_b32_e32 v6, v6, v16
	v_cmp_ne_u32_e32 vcc_lo, v11, v13
	v_lshl_or_b32 v13, v10, 12, v4
	s_wait_alu 0xfffd
	v_cndmask_b32_e64 v11, 0, 1, vcc_lo
	v_cmp_ne_u32_e32 vcc_lo, v6, v14
	v_lshl_or_b32 v14, v12, 12, v8
	s_delay_alu instid0(VALU_DEP_3) | instskip(SKIP_3) | instid1(VALU_DEP_2)
	v_or_b32_e32 v11, v15, v11
	s_wait_alu 0xfffd
	v_cndmask_b32_e64 v6, 0, 1, vcc_lo
	v_cmp_gt_i32_e32 vcc_lo, 1, v10
	v_or_b32_e32 v6, v16, v6
	s_wait_alu 0xfffd
	v_cndmask_b32_e32 v11, v13, v11, vcc_lo
	v_cmp_gt_i32_e32 vcc_lo, 1, v12
	s_wait_alu 0xfffd
	s_delay_alu instid0(VALU_DEP_2) | instskip(SKIP_2) | instid1(VALU_DEP_3)
	v_dual_cndmask_b32 v6, v14, v6 :: v_dual_and_b32 v13, 7, v11
	v_cmp_ne_u32_e32 vcc_lo, 0, v4
	v_lshrrev_b32_e32 v11, 2, v11
	v_cmp_eq_u32_e64 s0, 3, v13
	s_delay_alu instid0(VALU_DEP_4)
	v_and_b32_e32 v14, 7, v6
	s_wait_alu 0xfffd
	v_cndmask_b32_e64 v4, 0, 1, vcc_lo
	v_cmp_ne_u32_e32 vcc_lo, 0, v8
	v_lshrrev_b32_e32 v6, 2, v6
	v_cmp_lt_i32_e64 s1, 5, v14
	v_cmp_eq_u32_e64 s2, 3, v14
	s_wait_alu 0xfffd
	v_cndmask_b32_e64 v8, 0, 1, vcc_lo
	v_cmp_lt_i32_e32 vcc_lo, 5, v13
	v_lshl_or_b32 v4, v4, 9, 0x7c00
	s_delay_alu instid0(VALU_DEP_3)
	v_lshl_or_b32 v8, v8, 9, 0x7c00
	s_or_b32 vcc_lo, s0, vcc_lo
	s_wait_alu 0xfffe
	v_add_co_ci_u32_e32 v11, vcc_lo, 0, v11, vcc_lo
	s_or_b32 vcc_lo, s2, s1
	s_wait_alu 0xfffe
	v_add_co_ci_u32_e32 v6, vcc_lo, 0, v6, vcc_lo
	v_cmp_gt_i32_e32 vcc_lo, 31, v10
	s_wait_alu 0xfffd
	v_cndmask_b32_e32 v11, 0x7c00, v11, vcc_lo
	v_cmp_gt_i32_e32 vcc_lo, 31, v12
	s_wait_alu 0xfffd
	v_cndmask_b32_e32 v6, 0x7c00, v6, vcc_lo
	v_cmp_eq_u32_e32 vcc_lo, 0x40f, v10
	s_wait_alu 0xfffd
	v_cndmask_b32_e32 v4, v11, v4, vcc_lo
	v_cmp_eq_u32_e32 vcc_lo, 0x40f, v12
	s_delay_alu instid0(VALU_DEP_2)
	v_and_or_b32 v4, 0x8000, v7, v4
	s_wait_alu 0xfffd
	v_cndmask_b32_e32 v6, v6, v8, vcc_lo
	v_add_co_u32 v2, vcc_lo, v2, s6
	s_wait_alu 0xfffd
	v_add_co_ci_u32_e32 v3, vcc_lo, s7, v3, vcc_lo
	s_delay_alu instid0(VALU_DEP_3) | instskip(SKIP_1) | instid1(VALU_DEP_1)
	v_and_or_b32 v6, 0x8000, v9, v6
	v_and_b32_e32 v4, 0xffff, v4
	v_lshl_or_b32 v4, v6, 16, v4
	v_lshrrev_b32_e32 v6, 16, v5
	global_store_b32 v[2:3], v4, off
	global_load_b32 v4, v26, s[12:13] offset:320
	s_wait_loadcnt 0x0
	v_lshrrev_b32_e32 v7, 16, v4
	s_delay_alu instid0(VALU_DEP_1) | instskip(SKIP_1) | instid1(VALU_DEP_2)
	v_mul_f16_e32 v8, v6, v7
	v_mul_f16_e32 v7, v5, v7
	v_fmac_f16_e32 v8, v5, v4
	s_delay_alu instid0(VALU_DEP_2) | instskip(NEXT) | instid1(VALU_DEP_2)
	v_fma_f16 v4, v4, v6, -v7
	v_cvt_f32_f16_e32 v5, v8
	s_delay_alu instid0(VALU_DEP_2) | instskip(NEXT) | instid1(VALU_DEP_2)
	v_cvt_f32_f16_e32 v6, v4
	v_cvt_f64_f32_e32 v[4:5], v5
	s_delay_alu instid0(VALU_DEP_2) | instskip(NEXT) | instid1(VALU_DEP_2)
	v_cvt_f64_f32_e32 v[6:7], v6
	v_mul_f64_e32 v[4:5], s[8:9], v[4:5]
	s_delay_alu instid0(VALU_DEP_2) | instskip(NEXT) | instid1(VALU_DEP_2)
	v_mul_f64_e32 v[6:7], s[8:9], v[6:7]
	v_and_or_b32 v4, 0x1ff, v5, v4
	s_delay_alu instid0(VALU_DEP_2)
	v_and_or_b32 v6, 0x1ff, v7, v6
	v_lshrrev_b32_e32 v8, 8, v5
	v_bfe_u32 v9, v5, 20, 11
	v_lshrrev_b32_e32 v10, 8, v7
	v_cmp_ne_u32_e32 vcc_lo, 0, v4
	v_bfe_u32 v11, v7, 20, 11
	v_lshrrev_b32_e32 v5, 16, v5
	v_sub_nc_u32_e32 v12, 0x3f1, v9
	v_add_nc_u32_e32 v9, 0xfffffc10, v9
	s_wait_alu 0xfffd
	v_cndmask_b32_e64 v4, 0, 1, vcc_lo
	v_cmp_ne_u32_e32 vcc_lo, 0, v6
	v_lshrrev_b32_e32 v7, 16, v7
	s_delay_alu instid0(VALU_DEP_3) | instskip(SKIP_4) | instid1(VALU_DEP_3)
	v_and_or_b32 v4, 0xffe, v8, v4
	s_wait_alu 0xfffd
	v_cndmask_b32_e64 v6, 0, 1, vcc_lo
	v_sub_nc_u32_e32 v8, 0x3f1, v11
	v_add_nc_u32_e32 v11, 0xfffffc10, v11
	v_and_or_b32 v6, 0xffe, v10, v6
	v_med3_i32 v10, v12, 0, 13
	v_or_b32_e32 v12, 0x1000, v4
	v_med3_i32 v8, v8, 0, 13
	s_delay_alu instid0(VALU_DEP_4) | instskip(NEXT) | instid1(VALU_DEP_3)
	v_or_b32_e32 v13, 0x1000, v6
	v_lshrrev_b32_e32 v14, v10, v12
	s_delay_alu instid0(VALU_DEP_2) | instskip(NEXT) | instid1(VALU_DEP_2)
	v_lshrrev_b32_e32 v15, v8, v13
	v_lshlrev_b32_e32 v10, v10, v14
	s_delay_alu instid0(VALU_DEP_2) | instskip(NEXT) | instid1(VALU_DEP_2)
	v_lshlrev_b32_e32 v8, v8, v15
	v_cmp_ne_u32_e32 vcc_lo, v10, v12
	v_lshl_or_b32 v12, v9, 12, v4
	s_wait_alu 0xfffd
	v_cndmask_b32_e64 v10, 0, 1, vcc_lo
	v_cmp_ne_u32_e32 vcc_lo, v8, v13
	v_lshl_or_b32 v13, v11, 12, v6
	s_delay_alu instid0(VALU_DEP_3) | instskip(SKIP_3) | instid1(VALU_DEP_2)
	v_or_b32_e32 v10, v14, v10
	s_wait_alu 0xfffd
	v_cndmask_b32_e64 v8, 0, 1, vcc_lo
	v_cmp_gt_i32_e32 vcc_lo, 1, v9
	v_or_b32_e32 v8, v15, v8
	s_wait_alu 0xfffd
	v_cndmask_b32_e32 v10, v12, v10, vcc_lo
	v_cmp_gt_i32_e32 vcc_lo, 1, v11
	s_delay_alu instid0(VALU_DEP_2)
	v_and_b32_e32 v12, 7, v10
	s_wait_alu 0xfffd
	v_cndmask_b32_e32 v8, v13, v8, vcc_lo
	v_cmp_ne_u32_e32 vcc_lo, 0, v4
	v_lshrrev_b32_e32 v10, 2, v10
	v_cmp_eq_u32_e64 s0, 3, v12
	s_delay_alu instid0(VALU_DEP_4)
	v_and_b32_e32 v13, 7, v8
	s_wait_alu 0xfffd
	v_cndmask_b32_e64 v4, 0, 1, vcc_lo
	v_cmp_ne_u32_e32 vcc_lo, 0, v6
	v_lshrrev_b32_e32 v8, 2, v8
	v_cmp_lt_i32_e64 s1, 5, v13
	v_cmp_eq_u32_e64 s2, 3, v13
	s_wait_alu 0xfffd
	v_cndmask_b32_e64 v6, 0, 1, vcc_lo
	v_cmp_lt_i32_e32 vcc_lo, 5, v12
	v_lshl_or_b32 v4, v4, 9, 0x7c00
	s_delay_alu instid0(VALU_DEP_3)
	v_lshl_or_b32 v6, v6, 9, 0x7c00
	s_or_b32 vcc_lo, s0, vcc_lo
	s_wait_alu 0xfffe
	v_add_co_ci_u32_e32 v10, vcc_lo, 0, v10, vcc_lo
	s_or_b32 vcc_lo, s2, s1
	s_wait_alu 0xfffe
	v_add_co_ci_u32_e32 v8, vcc_lo, 0, v8, vcc_lo
	v_cmp_gt_i32_e32 vcc_lo, 31, v9
	s_wait_alu 0xfffd
	v_cndmask_b32_e32 v10, 0x7c00, v10, vcc_lo
	v_cmp_gt_i32_e32 vcc_lo, 31, v11
	s_wait_alu 0xfffd
	v_cndmask_b32_e32 v8, 0x7c00, v8, vcc_lo
	v_cmp_eq_u32_e32 vcc_lo, 0x40f, v9
	s_wait_alu 0xfffd
	v_cndmask_b32_e32 v4, v10, v4, vcc_lo
	v_cmp_eq_u32_e32 vcc_lo, 0x40f, v11
	s_delay_alu instid0(VALU_DEP_2)
	v_and_or_b32 v4, 0x8000, v5, v4
	s_wait_alu 0xfffd
	v_cndmask_b32_e32 v6, v8, v6, vcc_lo
	v_add_co_u32 v2, vcc_lo, v2, s6
	s_wait_alu 0xfffd
	v_add_co_ci_u32_e32 v3, vcc_lo, s7, v3, vcc_lo
	s_delay_alu instid0(VALU_DEP_3) | instskip(SKIP_1) | instid1(VALU_DEP_1)
	v_and_or_b32 v5, 0x8000, v7, v6
	v_and_b32_e32 v4, 0xffff, v4
	v_lshl_or_b32 v4, v5, 16, v4
	global_store_b32 v[2:3], v4, off
	global_load_b32 v6, v26, s[12:13] offset:400
	ds_load_2addr_b32 v[4:5], v30 offset0:100 offset1:120
	s_wait_dscnt 0x0
	v_lshrrev_b32_e32 v7, 16, v4
	s_wait_loadcnt 0x0
	v_lshrrev_b32_e32 v8, 16, v6
	s_delay_alu instid0(VALU_DEP_1) | instskip(SKIP_1) | instid1(VALU_DEP_2)
	v_mul_f16_e32 v9, v7, v8
	v_mul_f16_e32 v8, v4, v8
	v_fmac_f16_e32 v9, v4, v6
	s_delay_alu instid0(VALU_DEP_2) | instskip(NEXT) | instid1(VALU_DEP_2)
	v_fma_f16 v4, v6, v7, -v8
	v_cvt_f32_f16_e32 v6, v9
	s_delay_alu instid0(VALU_DEP_2) | instskip(NEXT) | instid1(VALU_DEP_2)
	v_cvt_f32_f16_e32 v4, v4
	v_cvt_f64_f32_e32 v[6:7], v6
	s_delay_alu instid0(VALU_DEP_2) | instskip(NEXT) | instid1(VALU_DEP_2)
	v_cvt_f64_f32_e32 v[8:9], v4
	v_mul_f64_e32 v[6:7], s[8:9], v[6:7]
	s_delay_alu instid0(VALU_DEP_2) | instskip(NEXT) | instid1(VALU_DEP_2)
	v_mul_f64_e32 v[8:9], s[8:9], v[8:9]
	v_and_or_b32 v4, 0x1ff, v7, v6
	s_delay_alu instid0(VALU_DEP_2)
	v_and_or_b32 v8, 0x1ff, v9, v8
	v_lshrrev_b32_e32 v6, 8, v7
	v_bfe_u32 v10, v7, 20, 11
	v_lshrrev_b32_e32 v11, 8, v9
	v_cmp_ne_u32_e32 vcc_lo, 0, v4
	v_bfe_u32 v12, v9, 20, 11
	v_lshrrev_b32_e32 v7, 16, v7
	v_sub_nc_u32_e32 v13, 0x3f1, v10
	v_add_nc_u32_e32 v10, 0xfffffc10, v10
	s_wait_alu 0xfffd
	v_cndmask_b32_e64 v4, 0, 1, vcc_lo
	v_cmp_ne_u32_e32 vcc_lo, 0, v8
	v_lshrrev_b32_e32 v9, 16, v9
	s_delay_alu instid0(VALU_DEP_3) | instskip(SKIP_4) | instid1(VALU_DEP_3)
	v_and_or_b32 v4, 0xffe, v6, v4
	s_wait_alu 0xfffd
	v_cndmask_b32_e64 v8, 0, 1, vcc_lo
	v_sub_nc_u32_e32 v6, 0x3f1, v12
	v_add_nc_u32_e32 v12, 0xfffffc10, v12
	v_and_or_b32 v8, 0xffe, v11, v8
	v_med3_i32 v11, v13, 0, 13
	v_or_b32_e32 v13, 0x1000, v4
	v_med3_i32 v6, v6, 0, 13
	s_delay_alu instid0(VALU_DEP_4) | instskip(NEXT) | instid1(VALU_DEP_3)
	v_or_b32_e32 v14, 0x1000, v8
	v_lshrrev_b32_e32 v15, v11, v13
	s_delay_alu instid0(VALU_DEP_2) | instskip(NEXT) | instid1(VALU_DEP_2)
	v_lshrrev_b32_e32 v16, v6, v14
	v_lshlrev_b32_e32 v11, v11, v15
	s_delay_alu instid0(VALU_DEP_2) | instskip(NEXT) | instid1(VALU_DEP_2)
	v_lshlrev_b32_e32 v6, v6, v16
	v_cmp_ne_u32_e32 vcc_lo, v11, v13
	v_lshl_or_b32 v13, v10, 12, v4
	s_wait_alu 0xfffd
	v_cndmask_b32_e64 v11, 0, 1, vcc_lo
	v_cmp_ne_u32_e32 vcc_lo, v6, v14
	v_lshl_or_b32 v14, v12, 12, v8
	s_delay_alu instid0(VALU_DEP_3) | instskip(SKIP_3) | instid1(VALU_DEP_2)
	v_or_b32_e32 v11, v15, v11
	s_wait_alu 0xfffd
	v_cndmask_b32_e64 v6, 0, 1, vcc_lo
	v_cmp_gt_i32_e32 vcc_lo, 1, v10
	v_or_b32_e32 v6, v16, v6
	s_wait_alu 0xfffd
	v_cndmask_b32_e32 v11, v13, v11, vcc_lo
	v_cmp_gt_i32_e32 vcc_lo, 1, v12
	s_wait_alu 0xfffd
	s_delay_alu instid0(VALU_DEP_2) | instskip(SKIP_2) | instid1(VALU_DEP_3)
	v_dual_cndmask_b32 v6, v14, v6 :: v_dual_and_b32 v13, 7, v11
	v_cmp_ne_u32_e32 vcc_lo, 0, v4
	v_lshrrev_b32_e32 v11, 2, v11
	v_cmp_eq_u32_e64 s0, 3, v13
	s_delay_alu instid0(VALU_DEP_4)
	v_and_b32_e32 v14, 7, v6
	s_wait_alu 0xfffd
	v_cndmask_b32_e64 v4, 0, 1, vcc_lo
	v_cmp_ne_u32_e32 vcc_lo, 0, v8
	v_lshrrev_b32_e32 v6, 2, v6
	v_cmp_lt_i32_e64 s1, 5, v14
	v_cmp_eq_u32_e64 s2, 3, v14
	s_wait_alu 0xfffd
	v_cndmask_b32_e64 v8, 0, 1, vcc_lo
	v_cmp_lt_i32_e32 vcc_lo, 5, v13
	v_lshl_or_b32 v4, v4, 9, 0x7c00
	s_delay_alu instid0(VALU_DEP_3)
	v_lshl_or_b32 v8, v8, 9, 0x7c00
	s_or_b32 vcc_lo, s0, vcc_lo
	s_wait_alu 0xfffe
	v_add_co_ci_u32_e32 v11, vcc_lo, 0, v11, vcc_lo
	s_or_b32 vcc_lo, s2, s1
	s_wait_alu 0xfffe
	v_add_co_ci_u32_e32 v6, vcc_lo, 0, v6, vcc_lo
	v_cmp_gt_i32_e32 vcc_lo, 31, v10
	s_wait_alu 0xfffd
	v_cndmask_b32_e32 v11, 0x7c00, v11, vcc_lo
	v_cmp_gt_i32_e32 vcc_lo, 31, v12
	s_wait_alu 0xfffd
	v_cndmask_b32_e32 v6, 0x7c00, v6, vcc_lo
	v_cmp_eq_u32_e32 vcc_lo, 0x40f, v10
	s_wait_alu 0xfffd
	v_cndmask_b32_e32 v4, v11, v4, vcc_lo
	v_cmp_eq_u32_e32 vcc_lo, 0x40f, v12
	s_delay_alu instid0(VALU_DEP_2)
	v_and_or_b32 v4, 0x8000, v7, v4
	s_wait_alu 0xfffd
	v_cndmask_b32_e32 v6, v6, v8, vcc_lo
	v_add_co_u32 v2, vcc_lo, v2, s6
	s_wait_alu 0xfffd
	v_add_co_ci_u32_e32 v3, vcc_lo, s7, v3, vcc_lo
	s_delay_alu instid0(VALU_DEP_3) | instskip(SKIP_1) | instid1(VALU_DEP_1)
	v_and_or_b32 v6, 0x8000, v9, v6
	v_and_b32_e32 v4, 0xffff, v4
	v_lshl_or_b32 v4, v6, 16, v4
	v_lshrrev_b32_e32 v6, 16, v5
	global_store_b32 v[2:3], v4, off
	global_load_b32 v4, v26, s[12:13] offset:480
	s_wait_loadcnt 0x0
	v_lshrrev_b32_e32 v7, 16, v4
	s_delay_alu instid0(VALU_DEP_1) | instskip(SKIP_1) | instid1(VALU_DEP_2)
	v_mul_f16_e32 v8, v6, v7
	v_mul_f16_e32 v7, v5, v7
	v_fmac_f16_e32 v8, v5, v4
	s_delay_alu instid0(VALU_DEP_2) | instskip(NEXT) | instid1(VALU_DEP_2)
	v_fma_f16 v4, v4, v6, -v7
	v_cvt_f32_f16_e32 v5, v8
	s_delay_alu instid0(VALU_DEP_2) | instskip(NEXT) | instid1(VALU_DEP_2)
	v_cvt_f32_f16_e32 v6, v4
	v_cvt_f64_f32_e32 v[4:5], v5
	s_delay_alu instid0(VALU_DEP_2) | instskip(NEXT) | instid1(VALU_DEP_2)
	v_cvt_f64_f32_e32 v[6:7], v6
	v_mul_f64_e32 v[4:5], s[8:9], v[4:5]
	s_delay_alu instid0(VALU_DEP_2) | instskip(NEXT) | instid1(VALU_DEP_2)
	v_mul_f64_e32 v[6:7], s[8:9], v[6:7]
	v_and_or_b32 v4, 0x1ff, v5, v4
	s_delay_alu instid0(VALU_DEP_2)
	v_and_or_b32 v6, 0x1ff, v7, v6
	v_lshrrev_b32_e32 v8, 8, v5
	v_bfe_u32 v9, v5, 20, 11
	v_lshrrev_b32_e32 v10, 8, v7
	v_cmp_ne_u32_e32 vcc_lo, 0, v4
	v_bfe_u32 v11, v7, 20, 11
	v_lshrrev_b32_e32 v5, 16, v5
	v_sub_nc_u32_e32 v12, 0x3f1, v9
	v_add_nc_u32_e32 v9, 0xfffffc10, v9
	s_wait_alu 0xfffd
	v_cndmask_b32_e64 v4, 0, 1, vcc_lo
	v_cmp_ne_u32_e32 vcc_lo, 0, v6
	v_lshrrev_b32_e32 v7, 16, v7
	s_delay_alu instid0(VALU_DEP_3) | instskip(SKIP_4) | instid1(VALU_DEP_3)
	v_and_or_b32 v4, 0xffe, v8, v4
	s_wait_alu 0xfffd
	v_cndmask_b32_e64 v6, 0, 1, vcc_lo
	v_sub_nc_u32_e32 v8, 0x3f1, v11
	v_add_nc_u32_e32 v11, 0xfffffc10, v11
	v_and_or_b32 v6, 0xffe, v10, v6
	v_med3_i32 v10, v12, 0, 13
	v_or_b32_e32 v12, 0x1000, v4
	v_med3_i32 v8, v8, 0, 13
	s_delay_alu instid0(VALU_DEP_4) | instskip(NEXT) | instid1(VALU_DEP_3)
	v_or_b32_e32 v13, 0x1000, v6
	v_lshrrev_b32_e32 v14, v10, v12
	s_delay_alu instid0(VALU_DEP_2) | instskip(NEXT) | instid1(VALU_DEP_2)
	v_lshrrev_b32_e32 v15, v8, v13
	v_lshlrev_b32_e32 v10, v10, v14
	s_delay_alu instid0(VALU_DEP_2) | instskip(NEXT) | instid1(VALU_DEP_2)
	v_lshlrev_b32_e32 v8, v8, v15
	v_cmp_ne_u32_e32 vcc_lo, v10, v12
	v_lshl_or_b32 v12, v9, 12, v4
	s_wait_alu 0xfffd
	v_cndmask_b32_e64 v10, 0, 1, vcc_lo
	v_cmp_ne_u32_e32 vcc_lo, v8, v13
	v_lshl_or_b32 v13, v11, 12, v6
	s_delay_alu instid0(VALU_DEP_3) | instskip(SKIP_3) | instid1(VALU_DEP_2)
	v_or_b32_e32 v10, v14, v10
	s_wait_alu 0xfffd
	v_cndmask_b32_e64 v8, 0, 1, vcc_lo
	v_cmp_gt_i32_e32 vcc_lo, 1, v9
	v_or_b32_e32 v8, v15, v8
	s_wait_alu 0xfffd
	v_cndmask_b32_e32 v10, v12, v10, vcc_lo
	v_cmp_gt_i32_e32 vcc_lo, 1, v11
	s_delay_alu instid0(VALU_DEP_2)
	v_and_b32_e32 v12, 7, v10
	s_wait_alu 0xfffd
	v_cndmask_b32_e32 v8, v13, v8, vcc_lo
	v_cmp_ne_u32_e32 vcc_lo, 0, v4
	v_lshrrev_b32_e32 v10, 2, v10
	v_cmp_eq_u32_e64 s0, 3, v12
	s_delay_alu instid0(VALU_DEP_4)
	v_and_b32_e32 v13, 7, v8
	s_wait_alu 0xfffd
	v_cndmask_b32_e64 v4, 0, 1, vcc_lo
	v_cmp_ne_u32_e32 vcc_lo, 0, v6
	v_lshrrev_b32_e32 v8, 2, v8
	v_cmp_lt_i32_e64 s1, 5, v13
	v_cmp_eq_u32_e64 s2, 3, v13
	s_wait_alu 0xfffd
	v_cndmask_b32_e64 v6, 0, 1, vcc_lo
	v_cmp_lt_i32_e32 vcc_lo, 5, v12
	v_lshl_or_b32 v4, v4, 9, 0x7c00
	s_delay_alu instid0(VALU_DEP_3)
	v_lshl_or_b32 v6, v6, 9, 0x7c00
	s_or_b32 vcc_lo, s0, vcc_lo
	s_wait_alu 0xfffe
	v_add_co_ci_u32_e32 v10, vcc_lo, 0, v10, vcc_lo
	s_or_b32 vcc_lo, s2, s1
	s_wait_alu 0xfffe
	v_add_co_ci_u32_e32 v8, vcc_lo, 0, v8, vcc_lo
	v_cmp_gt_i32_e32 vcc_lo, 31, v9
	s_wait_alu 0xfffd
	v_cndmask_b32_e32 v10, 0x7c00, v10, vcc_lo
	v_cmp_gt_i32_e32 vcc_lo, 31, v11
	s_wait_alu 0xfffd
	v_cndmask_b32_e32 v8, 0x7c00, v8, vcc_lo
	v_cmp_eq_u32_e32 vcc_lo, 0x40f, v9
	s_wait_alu 0xfffd
	v_cndmask_b32_e32 v4, v10, v4, vcc_lo
	v_cmp_eq_u32_e32 vcc_lo, 0x40f, v11
	s_delay_alu instid0(VALU_DEP_2)
	v_and_or_b32 v4, 0x8000, v5, v4
	s_wait_alu 0xfffd
	v_cndmask_b32_e32 v6, v8, v6, vcc_lo
	v_add_co_u32 v2, vcc_lo, v2, s6
	s_wait_alu 0xfffd
	v_add_co_ci_u32_e32 v3, vcc_lo, s7, v3, vcc_lo
	s_delay_alu instid0(VALU_DEP_3) | instskip(SKIP_1) | instid1(VALU_DEP_1)
	v_and_or_b32 v5, 0x8000, v7, v6
	v_and_b32_e32 v4, 0xffff, v4
	v_lshl_or_b32 v4, v5, 16, v4
	global_store_b32 v[2:3], v4, off
	global_load_b32 v6, v26, s[12:13] offset:560
	ds_load_2addr_b32 v[4:5], v30 offset0:140 offset1:160
	s_wait_dscnt 0x0
	v_lshrrev_b32_e32 v7, 16, v4
	s_wait_loadcnt 0x0
	v_lshrrev_b32_e32 v8, 16, v6
	s_delay_alu instid0(VALU_DEP_1) | instskip(SKIP_1) | instid1(VALU_DEP_2)
	v_mul_f16_e32 v9, v7, v8
	v_mul_f16_e32 v8, v4, v8
	v_fmac_f16_e32 v9, v4, v6
	s_delay_alu instid0(VALU_DEP_2) | instskip(NEXT) | instid1(VALU_DEP_2)
	v_fma_f16 v4, v6, v7, -v8
	v_cvt_f32_f16_e32 v6, v9
	s_delay_alu instid0(VALU_DEP_2) | instskip(NEXT) | instid1(VALU_DEP_2)
	v_cvt_f32_f16_e32 v4, v4
	v_cvt_f64_f32_e32 v[6:7], v6
	s_delay_alu instid0(VALU_DEP_2) | instskip(NEXT) | instid1(VALU_DEP_2)
	v_cvt_f64_f32_e32 v[8:9], v4
	v_mul_f64_e32 v[6:7], s[8:9], v[6:7]
	s_delay_alu instid0(VALU_DEP_2) | instskip(NEXT) | instid1(VALU_DEP_2)
	v_mul_f64_e32 v[8:9], s[8:9], v[8:9]
	v_and_or_b32 v4, 0x1ff, v7, v6
	s_delay_alu instid0(VALU_DEP_2)
	v_and_or_b32 v8, 0x1ff, v9, v8
	v_lshrrev_b32_e32 v6, 8, v7
	v_bfe_u32 v10, v7, 20, 11
	v_lshrrev_b32_e32 v11, 8, v9
	v_cmp_ne_u32_e32 vcc_lo, 0, v4
	v_bfe_u32 v12, v9, 20, 11
	v_lshrrev_b32_e32 v7, 16, v7
	v_sub_nc_u32_e32 v13, 0x3f1, v10
	v_add_nc_u32_e32 v10, 0xfffffc10, v10
	s_wait_alu 0xfffd
	v_cndmask_b32_e64 v4, 0, 1, vcc_lo
	v_cmp_ne_u32_e32 vcc_lo, 0, v8
	v_lshrrev_b32_e32 v9, 16, v9
	s_delay_alu instid0(VALU_DEP_3) | instskip(SKIP_4) | instid1(VALU_DEP_3)
	v_and_or_b32 v4, 0xffe, v6, v4
	s_wait_alu 0xfffd
	v_cndmask_b32_e64 v8, 0, 1, vcc_lo
	v_sub_nc_u32_e32 v6, 0x3f1, v12
	v_add_nc_u32_e32 v12, 0xfffffc10, v12
	v_and_or_b32 v8, 0xffe, v11, v8
	v_med3_i32 v11, v13, 0, 13
	v_or_b32_e32 v13, 0x1000, v4
	v_med3_i32 v6, v6, 0, 13
	s_delay_alu instid0(VALU_DEP_4) | instskip(NEXT) | instid1(VALU_DEP_3)
	v_or_b32_e32 v14, 0x1000, v8
	v_lshrrev_b32_e32 v15, v11, v13
	s_delay_alu instid0(VALU_DEP_2) | instskip(NEXT) | instid1(VALU_DEP_2)
	v_lshrrev_b32_e32 v16, v6, v14
	v_lshlrev_b32_e32 v11, v11, v15
	s_delay_alu instid0(VALU_DEP_2) | instskip(NEXT) | instid1(VALU_DEP_2)
	v_lshlrev_b32_e32 v6, v6, v16
	v_cmp_ne_u32_e32 vcc_lo, v11, v13
	v_lshl_or_b32 v13, v10, 12, v4
	s_wait_alu 0xfffd
	v_cndmask_b32_e64 v11, 0, 1, vcc_lo
	v_cmp_ne_u32_e32 vcc_lo, v6, v14
	v_lshl_or_b32 v14, v12, 12, v8
	s_delay_alu instid0(VALU_DEP_3) | instskip(SKIP_3) | instid1(VALU_DEP_2)
	v_or_b32_e32 v11, v15, v11
	s_wait_alu 0xfffd
	v_cndmask_b32_e64 v6, 0, 1, vcc_lo
	v_cmp_gt_i32_e32 vcc_lo, 1, v10
	v_or_b32_e32 v6, v16, v6
	s_wait_alu 0xfffd
	v_cndmask_b32_e32 v11, v13, v11, vcc_lo
	v_cmp_gt_i32_e32 vcc_lo, 1, v12
	s_wait_alu 0xfffd
	s_delay_alu instid0(VALU_DEP_2) | instskip(SKIP_2) | instid1(VALU_DEP_3)
	v_dual_cndmask_b32 v6, v14, v6 :: v_dual_and_b32 v13, 7, v11
	v_cmp_ne_u32_e32 vcc_lo, 0, v4
	v_lshrrev_b32_e32 v11, 2, v11
	v_cmp_eq_u32_e64 s0, 3, v13
	s_delay_alu instid0(VALU_DEP_4)
	v_and_b32_e32 v14, 7, v6
	s_wait_alu 0xfffd
	v_cndmask_b32_e64 v4, 0, 1, vcc_lo
	v_cmp_ne_u32_e32 vcc_lo, 0, v8
	v_lshrrev_b32_e32 v6, 2, v6
	v_cmp_lt_i32_e64 s1, 5, v14
	v_cmp_eq_u32_e64 s2, 3, v14
	s_wait_alu 0xfffd
	v_cndmask_b32_e64 v8, 0, 1, vcc_lo
	v_cmp_lt_i32_e32 vcc_lo, 5, v13
	v_lshl_or_b32 v4, v4, 9, 0x7c00
	s_delay_alu instid0(VALU_DEP_3)
	v_lshl_or_b32 v8, v8, 9, 0x7c00
	s_or_b32 vcc_lo, s0, vcc_lo
	s_wait_alu 0xfffe
	v_add_co_ci_u32_e32 v11, vcc_lo, 0, v11, vcc_lo
	s_or_b32 vcc_lo, s2, s1
	s_wait_alu 0xfffe
	v_add_co_ci_u32_e32 v6, vcc_lo, 0, v6, vcc_lo
	v_cmp_gt_i32_e32 vcc_lo, 31, v10
	s_wait_alu 0xfffd
	v_cndmask_b32_e32 v11, 0x7c00, v11, vcc_lo
	v_cmp_gt_i32_e32 vcc_lo, 31, v12
	s_wait_alu 0xfffd
	v_cndmask_b32_e32 v6, 0x7c00, v6, vcc_lo
	v_cmp_eq_u32_e32 vcc_lo, 0x40f, v10
	s_wait_alu 0xfffd
	v_cndmask_b32_e32 v4, v11, v4, vcc_lo
	v_cmp_eq_u32_e32 vcc_lo, 0x40f, v12
	s_delay_alu instid0(VALU_DEP_2)
	v_and_or_b32 v4, 0x8000, v7, v4
	s_wait_alu 0xfffd
	v_cndmask_b32_e32 v6, v6, v8, vcc_lo
	v_add_co_u32 v2, vcc_lo, v2, s6
	s_wait_alu 0xfffd
	v_add_co_ci_u32_e32 v3, vcc_lo, s7, v3, vcc_lo
	s_delay_alu instid0(VALU_DEP_3) | instskip(SKIP_1) | instid1(VALU_DEP_1)
	v_and_or_b32 v6, 0x8000, v9, v6
	v_and_b32_e32 v4, 0xffff, v4
	v_lshl_or_b32 v4, v6, 16, v4
	v_lshrrev_b32_e32 v6, 16, v5
	global_store_b32 v[2:3], v4, off
	global_load_b32 v4, v26, s[12:13] offset:640
	v_mad_co_u64_u32 v[2:3], null, 0xa0, s4, v[2:3]
	s_wait_loadcnt 0x0
	v_lshrrev_b32_e32 v7, 16, v4
	s_delay_alu instid0(VALU_DEP_1) | instskip(SKIP_1) | instid1(VALU_DEP_2)
	v_mul_f16_e32 v8, v6, v7
	v_mul_f16_e32 v7, v5, v7
	v_fmac_f16_e32 v8, v5, v4
	s_delay_alu instid0(VALU_DEP_2) | instskip(NEXT) | instid1(VALU_DEP_2)
	v_fma_f16 v4, v4, v6, -v7
	v_cvt_f32_f16_e32 v5, v8
	s_delay_alu instid0(VALU_DEP_2) | instskip(NEXT) | instid1(VALU_DEP_2)
	v_cvt_f32_f16_e32 v6, v4
	v_cvt_f64_f32_e32 v[4:5], v5
	s_delay_alu instid0(VALU_DEP_2) | instskip(NEXT) | instid1(VALU_DEP_2)
	v_cvt_f64_f32_e32 v[6:7], v6
	v_mul_f64_e32 v[4:5], s[8:9], v[4:5]
	s_delay_alu instid0(VALU_DEP_2) | instskip(NEXT) | instid1(VALU_DEP_2)
	v_mul_f64_e32 v[6:7], s[8:9], v[6:7]
	v_and_or_b32 v4, 0x1ff, v5, v4
	s_delay_alu instid0(VALU_DEP_2)
	v_and_or_b32 v6, 0x1ff, v7, v6
	v_lshrrev_b32_e32 v8, 8, v5
	v_bfe_u32 v10, v5, 20, 11
	v_bfe_u32 v11, v7, 20, 11
	v_cmp_ne_u32_e32 vcc_lo, 0, v4
	v_lshrrev_b32_e32 v9, 8, v7
	v_lshrrev_b32_e32 v7, 16, v7
	v_sub_nc_u32_e32 v12, 0x3f1, v10
	v_sub_nc_u32_e32 v13, 0x3f1, v11
	s_wait_alu 0xfffd
	v_cndmask_b32_e64 v4, 0, 1, vcc_lo
	v_cmp_ne_u32_e32 vcc_lo, 0, v6
	v_add_nc_u32_e32 v11, 0xfffffc10, v11
	s_delay_alu instid0(VALU_DEP_3)
	v_and_or_b32 v14, 0xffe, v8, v4
	s_wait_alu 0xfffd
	v_cndmask_b32_e64 v6, 0, 1, vcc_lo
	v_med3_i32 v4, v12, 0, 13
	v_med3_i32 v12, v13, 0, 13
	v_or_b32_e32 v13, 0x1000, v14
	s_delay_alu instid0(VALU_DEP_4) | instskip(SKIP_1) | instid1(VALU_DEP_3)
	v_and_or_b32 v6, 0xffe, v9, v6
	v_mad_co_u64_u32 v[8:9], null, s4, v27, 0
	v_lshrrev_b32_e32 v16, v4, v13
	s_delay_alu instid0(VALU_DEP_3) | instskip(NEXT) | instid1(VALU_DEP_2)
	v_or_b32_e32 v15, 0x1000, v6
	v_lshlrev_b32_e32 v18, v4, v16
	s_delay_alu instid0(VALU_DEP_2) | instskip(SKIP_1) | instid1(VALU_DEP_3)
	v_lshrrev_b32_e32 v17, v12, v15
	v_mov_b32_e32 v4, v9
	v_cmp_ne_u32_e32 vcc_lo, v18, v13
	s_delay_alu instid0(VALU_DEP_3) | instskip(SKIP_3) | instid1(VALU_DEP_3)
	v_lshlrev_b32_e32 v9, v12, v17
	v_add_nc_u32_e32 v12, 0xfffffc10, v10
	s_wait_alu 0xfffd
	v_cndmask_b32_e64 v13, 0, 1, vcc_lo
	v_cmp_ne_u32_e32 vcc_lo, v9, v15
	v_mad_co_u64_u32 v[9:10], null, s5, v27, v[4:5]
	v_lshl_or_b32 v4, v12, 12, v14
	s_delay_alu instid0(VALU_DEP_4)
	v_or_b32_e32 v10, v16, v13
	s_wait_alu 0xfffd
	v_cndmask_b32_e64 v15, 0, 1, vcc_lo
	v_cmp_gt_i32_e32 vcc_lo, 1, v12
	v_lshl_or_b32 v13, v11, 12, v6
	v_lshrrev_b32_e32 v5, 16, v5
	s_delay_alu instid0(VALU_DEP_4)
	v_or_b32_e32 v15, v17, v15
	s_wait_alu 0xfffd
	v_cndmask_b32_e32 v4, v4, v10, vcc_lo
	v_cmp_gt_i32_e32 vcc_lo, 1, v11
	s_wait_alu 0xfffd
	v_cndmask_b32_e32 v10, v13, v15, vcc_lo
	v_cmp_ne_u32_e32 vcc_lo, 0, v14
	v_and_b32_e32 v14, 7, v4
	v_lshrrev_b32_e32 v4, 2, v4
	s_delay_alu instid0(VALU_DEP_4)
	v_and_b32_e32 v15, 7, v10
	s_wait_alu 0xfffd
	v_cndmask_b32_e64 v13, 0, 1, vcc_lo
	v_cmp_ne_u32_e32 vcc_lo, 0, v6
	v_cmp_eq_u32_e64 s0, 3, v14
	v_lshrrev_b32_e32 v10, 2, v10
	v_cmp_lt_i32_e64 s1, 5, v15
	v_cmp_eq_u32_e64 s2, 3, v15
	s_wait_alu 0xfffd
	v_cndmask_b32_e64 v6, 0, 1, vcc_lo
	v_cmp_lt_i32_e32 vcc_lo, 5, v14
	v_lshl_or_b32 v13, v13, 9, 0x7c00
	s_delay_alu instid0(VALU_DEP_3)
	v_lshl_or_b32 v6, v6, 9, 0x7c00
	s_or_b32 vcc_lo, s0, vcc_lo
	s_wait_alu 0xfffe
	v_add_co_ci_u32_e32 v4, vcc_lo, 0, v4, vcc_lo
	s_or_b32 vcc_lo, s2, s1
	s_wait_alu 0xfffe
	v_add_co_ci_u32_e32 v10, vcc_lo, 0, v10, vcc_lo
	v_cmp_gt_i32_e32 vcc_lo, 31, v12
	s_wait_alu 0xfffd
	v_cndmask_b32_e32 v4, 0x7c00, v4, vcc_lo
	v_cmp_gt_i32_e32 vcc_lo, 31, v11
	s_wait_alu 0xfffd
	v_cndmask_b32_e32 v10, 0x7c00, v10, vcc_lo
	v_cmp_eq_u32_e32 vcc_lo, 0x40f, v12
	s_wait_alu 0xfffd
	v_cndmask_b32_e32 v4, v4, v13, vcc_lo
	v_cmp_eq_u32_e32 vcc_lo, 0x40f, v11
	s_wait_alu 0xfffd
	v_cndmask_b32_e32 v6, v10, v6, vcc_lo
	s_delay_alu instid0(VALU_DEP_3) | instskip(SKIP_1) | instid1(VALU_DEP_3)
	v_and_or_b32 v10, 0x8000, v5, v4
	v_lshlrev_b64_e32 v[4:5], 2, v[8:9]
	v_and_or_b32 v6, 0x8000, v7, v6
	s_delay_alu instid0(VALU_DEP_3) | instskip(NEXT) | instid1(VALU_DEP_3)
	v_and_b32_e32 v7, 0xffff, v10
	v_add_co_u32 v4, vcc_lo, v0, v4
	s_wait_alu 0xfffd
	s_delay_alu instid0(VALU_DEP_4) | instskip(NEXT) | instid1(VALU_DEP_3)
	v_add_co_ci_u32_e32 v5, vcc_lo, v1, v5, vcc_lo
	v_lshl_or_b32 v6, v6, 16, v7
	global_store_b32 v[4:5], v6, off
	global_load_b32 v6, v26, s[12:13] offset:720
	ds_load_2addr_b32 v[4:5], v30 offset0:180 offset1:200
	s_wait_dscnt 0x0
	v_lshrrev_b32_e32 v7, 16, v4
	s_wait_loadcnt 0x0
	v_lshrrev_b32_e32 v8, 16, v6
	s_delay_alu instid0(VALU_DEP_1) | instskip(SKIP_1) | instid1(VALU_DEP_2)
	v_mul_f16_e32 v9, v7, v8
	v_mul_f16_e32 v8, v4, v8
	v_fmac_f16_e32 v9, v4, v6
	s_delay_alu instid0(VALU_DEP_2) | instskip(NEXT) | instid1(VALU_DEP_2)
	v_fma_f16 v4, v6, v7, -v8
	v_cvt_f32_f16_e32 v6, v9
	s_delay_alu instid0(VALU_DEP_2) | instskip(NEXT) | instid1(VALU_DEP_2)
	v_cvt_f32_f16_e32 v4, v4
	v_cvt_f64_f32_e32 v[6:7], v6
	s_delay_alu instid0(VALU_DEP_2) | instskip(NEXT) | instid1(VALU_DEP_2)
	v_cvt_f64_f32_e32 v[8:9], v4
	v_mul_f64_e32 v[6:7], s[8:9], v[6:7]
	s_delay_alu instid0(VALU_DEP_2) | instskip(NEXT) | instid1(VALU_DEP_2)
	v_mul_f64_e32 v[8:9], s[8:9], v[8:9]
	v_and_or_b32 v4, 0x1ff, v7, v6
	s_delay_alu instid0(VALU_DEP_2)
	v_and_or_b32 v8, 0x1ff, v9, v8
	v_lshrrev_b32_e32 v6, 8, v7
	v_bfe_u32 v10, v7, 20, 11
	v_lshrrev_b32_e32 v11, 8, v9
	v_cmp_ne_u32_e32 vcc_lo, 0, v4
	v_bfe_u32 v12, v9, 20, 11
	v_lshrrev_b32_e32 v7, 16, v7
	v_sub_nc_u32_e32 v13, 0x3f1, v10
	v_add_nc_u32_e32 v10, 0xfffffc10, v10
	s_wait_alu 0xfffd
	v_cndmask_b32_e64 v4, 0, 1, vcc_lo
	v_cmp_ne_u32_e32 vcc_lo, 0, v8
	v_lshrrev_b32_e32 v9, 16, v9
	s_delay_alu instid0(VALU_DEP_3) | instskip(SKIP_4) | instid1(VALU_DEP_3)
	v_and_or_b32 v4, 0xffe, v6, v4
	s_wait_alu 0xfffd
	v_cndmask_b32_e64 v8, 0, 1, vcc_lo
	v_sub_nc_u32_e32 v6, 0x3f1, v12
	v_add_nc_u32_e32 v12, 0xfffffc10, v12
	v_and_or_b32 v8, 0xffe, v11, v8
	v_med3_i32 v11, v13, 0, 13
	v_or_b32_e32 v13, 0x1000, v4
	v_med3_i32 v6, v6, 0, 13
	s_delay_alu instid0(VALU_DEP_4) | instskip(NEXT) | instid1(VALU_DEP_3)
	v_or_b32_e32 v14, 0x1000, v8
	v_lshrrev_b32_e32 v15, v11, v13
	s_delay_alu instid0(VALU_DEP_2) | instskip(NEXT) | instid1(VALU_DEP_2)
	v_lshrrev_b32_e32 v16, v6, v14
	v_lshlrev_b32_e32 v11, v11, v15
	s_delay_alu instid0(VALU_DEP_2) | instskip(NEXT) | instid1(VALU_DEP_2)
	v_lshlrev_b32_e32 v6, v6, v16
	v_cmp_ne_u32_e32 vcc_lo, v11, v13
	v_lshl_or_b32 v13, v10, 12, v4
	s_wait_alu 0xfffd
	v_cndmask_b32_e64 v11, 0, 1, vcc_lo
	v_cmp_ne_u32_e32 vcc_lo, v6, v14
	v_lshl_or_b32 v14, v12, 12, v8
	s_delay_alu instid0(VALU_DEP_3) | instskip(SKIP_3) | instid1(VALU_DEP_2)
	v_or_b32_e32 v11, v15, v11
	s_wait_alu 0xfffd
	v_cndmask_b32_e64 v6, 0, 1, vcc_lo
	v_cmp_gt_i32_e32 vcc_lo, 1, v10
	v_or_b32_e32 v6, v16, v6
	s_wait_alu 0xfffd
	v_cndmask_b32_e32 v11, v13, v11, vcc_lo
	v_cmp_gt_i32_e32 vcc_lo, 1, v12
	s_wait_alu 0xfffd
	s_delay_alu instid0(VALU_DEP_2) | instskip(SKIP_2) | instid1(VALU_DEP_3)
	v_dual_cndmask_b32 v6, v14, v6 :: v_dual_and_b32 v13, 7, v11
	v_cmp_ne_u32_e32 vcc_lo, 0, v4
	v_lshrrev_b32_e32 v11, 2, v11
	v_cmp_eq_u32_e64 s0, 3, v13
	s_delay_alu instid0(VALU_DEP_4)
	v_and_b32_e32 v14, 7, v6
	s_wait_alu 0xfffd
	v_cndmask_b32_e64 v4, 0, 1, vcc_lo
	v_cmp_ne_u32_e32 vcc_lo, 0, v8
	v_lshrrev_b32_e32 v6, 2, v6
	v_cmp_lt_i32_e64 s1, 5, v14
	v_cmp_eq_u32_e64 s2, 3, v14
	s_wait_alu 0xfffd
	v_cndmask_b32_e64 v8, 0, 1, vcc_lo
	v_cmp_lt_i32_e32 vcc_lo, 5, v13
	v_lshl_or_b32 v4, v4, 9, 0x7c00
	s_delay_alu instid0(VALU_DEP_3)
	v_lshl_or_b32 v8, v8, 9, 0x7c00
	s_or_b32 vcc_lo, s0, vcc_lo
	s_wait_alu 0xfffe
	v_add_co_ci_u32_e32 v11, vcc_lo, 0, v11, vcc_lo
	s_or_b32 vcc_lo, s2, s1
	s_wait_alu 0xfffe
	v_add_co_ci_u32_e32 v6, vcc_lo, 0, v6, vcc_lo
	v_cmp_gt_i32_e32 vcc_lo, 31, v10
	s_wait_alu 0xfffd
	v_cndmask_b32_e32 v11, 0x7c00, v11, vcc_lo
	v_cmp_gt_i32_e32 vcc_lo, 31, v12
	s_wait_alu 0xfffd
	v_cndmask_b32_e32 v6, 0x7c00, v6, vcc_lo
	v_cmp_eq_u32_e32 vcc_lo, 0x40f, v10
	s_wait_alu 0xfffd
	v_cndmask_b32_e32 v4, v11, v4, vcc_lo
	v_cmp_eq_u32_e32 vcc_lo, 0x40f, v12
	s_delay_alu instid0(VALU_DEP_2) | instskip(SKIP_3) | instid1(VALU_DEP_2)
	v_and_or_b32 v7, 0x8000, v7, v4
	s_wait_alu 0xfffd
	v_cndmask_b32_e32 v6, v6, v8, vcc_lo
	v_mad_co_u64_u32 v[3:4], null, 0xa0, s5, v[3:4]
	v_and_or_b32 v4, 0x8000, v9, v6
	v_and_b32_e32 v6, 0xffff, v7
	s_delay_alu instid0(VALU_DEP_1)
	v_lshl_or_b32 v4, v4, 16, v6
	v_lshrrev_b32_e32 v6, 16, v5
	global_store_b32 v[2:3], v4, off
	global_load_b32 v4, v26, s[12:13] offset:800
	s_wait_loadcnt 0x0
	v_lshrrev_b32_e32 v7, 16, v4
	s_delay_alu instid0(VALU_DEP_1) | instskip(SKIP_1) | instid1(VALU_DEP_2)
	v_mul_f16_e32 v8, v6, v7
	v_mul_f16_e32 v7, v5, v7
	v_fmac_f16_e32 v8, v5, v4
	s_delay_alu instid0(VALU_DEP_2) | instskip(NEXT) | instid1(VALU_DEP_2)
	v_fma_f16 v4, v4, v6, -v7
	v_cvt_f32_f16_e32 v5, v8
	s_delay_alu instid0(VALU_DEP_2) | instskip(NEXT) | instid1(VALU_DEP_2)
	v_cvt_f32_f16_e32 v6, v4
	v_cvt_f64_f32_e32 v[4:5], v5
	s_delay_alu instid0(VALU_DEP_2) | instskip(NEXT) | instid1(VALU_DEP_2)
	v_cvt_f64_f32_e32 v[6:7], v6
	v_mul_f64_e32 v[4:5], s[8:9], v[4:5]
	s_delay_alu instid0(VALU_DEP_2) | instskip(NEXT) | instid1(VALU_DEP_2)
	v_mul_f64_e32 v[6:7], s[8:9], v[6:7]
	v_and_or_b32 v4, 0x1ff, v5, v4
	s_delay_alu instid0(VALU_DEP_2)
	v_and_or_b32 v6, 0x1ff, v7, v6
	v_lshrrev_b32_e32 v8, 8, v5
	v_bfe_u32 v9, v5, 20, 11
	v_lshrrev_b32_e32 v10, 8, v7
	v_cmp_ne_u32_e32 vcc_lo, 0, v4
	v_bfe_u32 v11, v7, 20, 11
	v_lshrrev_b32_e32 v5, 16, v5
	v_sub_nc_u32_e32 v12, 0x3f1, v9
	v_add_nc_u32_e32 v9, 0xfffffc10, v9
	s_wait_alu 0xfffd
	v_cndmask_b32_e64 v4, 0, 1, vcc_lo
	v_cmp_ne_u32_e32 vcc_lo, 0, v6
	v_lshrrev_b32_e32 v7, 16, v7
	s_delay_alu instid0(VALU_DEP_3) | instskip(SKIP_4) | instid1(VALU_DEP_3)
	v_and_or_b32 v4, 0xffe, v8, v4
	s_wait_alu 0xfffd
	v_cndmask_b32_e64 v6, 0, 1, vcc_lo
	v_sub_nc_u32_e32 v8, 0x3f1, v11
	v_add_nc_u32_e32 v11, 0xfffffc10, v11
	v_and_or_b32 v6, 0xffe, v10, v6
	v_med3_i32 v10, v12, 0, 13
	v_or_b32_e32 v12, 0x1000, v4
	v_med3_i32 v8, v8, 0, 13
	s_delay_alu instid0(VALU_DEP_4) | instskip(NEXT) | instid1(VALU_DEP_3)
	v_or_b32_e32 v13, 0x1000, v6
	v_lshrrev_b32_e32 v14, v10, v12
	s_delay_alu instid0(VALU_DEP_2) | instskip(NEXT) | instid1(VALU_DEP_2)
	v_lshrrev_b32_e32 v15, v8, v13
	v_lshlrev_b32_e32 v10, v10, v14
	s_delay_alu instid0(VALU_DEP_2) | instskip(NEXT) | instid1(VALU_DEP_2)
	v_lshlrev_b32_e32 v8, v8, v15
	v_cmp_ne_u32_e32 vcc_lo, v10, v12
	v_lshl_or_b32 v12, v9, 12, v4
	s_wait_alu 0xfffd
	v_cndmask_b32_e64 v10, 0, 1, vcc_lo
	v_cmp_ne_u32_e32 vcc_lo, v8, v13
	v_lshl_or_b32 v13, v11, 12, v6
	s_delay_alu instid0(VALU_DEP_3) | instskip(SKIP_3) | instid1(VALU_DEP_2)
	v_or_b32_e32 v10, v14, v10
	s_wait_alu 0xfffd
	v_cndmask_b32_e64 v8, 0, 1, vcc_lo
	v_cmp_gt_i32_e32 vcc_lo, 1, v9
	v_or_b32_e32 v8, v15, v8
	s_wait_alu 0xfffd
	v_cndmask_b32_e32 v10, v12, v10, vcc_lo
	v_cmp_gt_i32_e32 vcc_lo, 1, v11
	s_delay_alu instid0(VALU_DEP_2)
	v_and_b32_e32 v12, 7, v10
	s_wait_alu 0xfffd
	v_cndmask_b32_e32 v8, v13, v8, vcc_lo
	v_cmp_ne_u32_e32 vcc_lo, 0, v4
	v_lshrrev_b32_e32 v10, 2, v10
	v_cmp_eq_u32_e64 s0, 3, v12
	s_delay_alu instid0(VALU_DEP_4)
	v_and_b32_e32 v13, 7, v8
	s_wait_alu 0xfffd
	v_cndmask_b32_e64 v4, 0, 1, vcc_lo
	v_cmp_ne_u32_e32 vcc_lo, 0, v6
	v_lshrrev_b32_e32 v8, 2, v8
	v_cmp_lt_i32_e64 s1, 5, v13
	v_cmp_eq_u32_e64 s2, 3, v13
	s_wait_alu 0xfffd
	v_cndmask_b32_e64 v6, 0, 1, vcc_lo
	v_cmp_lt_i32_e32 vcc_lo, 5, v12
	v_lshl_or_b32 v4, v4, 9, 0x7c00
	s_delay_alu instid0(VALU_DEP_3)
	v_lshl_or_b32 v6, v6, 9, 0x7c00
	s_or_b32 vcc_lo, s0, vcc_lo
	s_wait_alu 0xfffe
	v_add_co_ci_u32_e32 v10, vcc_lo, 0, v10, vcc_lo
	s_or_b32 vcc_lo, s2, s1
	s_wait_alu 0xfffe
	v_add_co_ci_u32_e32 v8, vcc_lo, 0, v8, vcc_lo
	v_cmp_gt_i32_e32 vcc_lo, 31, v9
	s_wait_alu 0xfffd
	v_cndmask_b32_e32 v10, 0x7c00, v10, vcc_lo
	v_cmp_gt_i32_e32 vcc_lo, 31, v11
	s_wait_alu 0xfffd
	v_cndmask_b32_e32 v8, 0x7c00, v8, vcc_lo
	v_cmp_eq_u32_e32 vcc_lo, 0x40f, v9
	s_wait_alu 0xfffd
	v_cndmask_b32_e32 v4, v10, v4, vcc_lo
	v_cmp_eq_u32_e32 vcc_lo, 0x40f, v11
	s_delay_alu instid0(VALU_DEP_2)
	v_and_or_b32 v4, 0x8000, v5, v4
	s_wait_alu 0xfffd
	v_cndmask_b32_e32 v6, v8, v6, vcc_lo
	v_add_co_u32 v2, vcc_lo, v2, s6
	s_wait_alu 0xfffd
	v_add_co_ci_u32_e32 v3, vcc_lo, s7, v3, vcc_lo
	s_delay_alu instid0(VALU_DEP_3) | instskip(SKIP_1) | instid1(VALU_DEP_1)
	v_and_or_b32 v5, 0x8000, v7, v6
	v_and_b32_e32 v4, 0xffff, v4
	v_lshl_or_b32 v4, v5, 16, v4
	global_store_b32 v[2:3], v4, off
	global_load_b32 v6, v26, s[12:13] offset:880
	ds_load_2addr_b32 v[4:5], v30 offset0:220 offset1:240
	s_wait_dscnt 0x0
	v_lshrrev_b32_e32 v7, 16, v4
	s_wait_loadcnt 0x0
	v_lshrrev_b32_e32 v8, 16, v6
	s_delay_alu instid0(VALU_DEP_1) | instskip(SKIP_1) | instid1(VALU_DEP_2)
	v_mul_f16_e32 v9, v7, v8
	v_mul_f16_e32 v8, v4, v8
	v_fmac_f16_e32 v9, v4, v6
	s_delay_alu instid0(VALU_DEP_2) | instskip(NEXT) | instid1(VALU_DEP_2)
	v_fma_f16 v4, v6, v7, -v8
	v_cvt_f32_f16_e32 v6, v9
	s_delay_alu instid0(VALU_DEP_2) | instskip(NEXT) | instid1(VALU_DEP_2)
	v_cvt_f32_f16_e32 v4, v4
	v_cvt_f64_f32_e32 v[6:7], v6
	s_delay_alu instid0(VALU_DEP_2) | instskip(NEXT) | instid1(VALU_DEP_2)
	v_cvt_f64_f32_e32 v[8:9], v4
	v_mul_f64_e32 v[6:7], s[8:9], v[6:7]
	s_delay_alu instid0(VALU_DEP_2) | instskip(NEXT) | instid1(VALU_DEP_2)
	v_mul_f64_e32 v[8:9], s[8:9], v[8:9]
	v_and_or_b32 v4, 0x1ff, v7, v6
	s_delay_alu instid0(VALU_DEP_2)
	v_and_or_b32 v8, 0x1ff, v9, v8
	v_lshrrev_b32_e32 v6, 8, v7
	v_bfe_u32 v10, v7, 20, 11
	v_lshrrev_b32_e32 v11, 8, v9
	v_cmp_ne_u32_e32 vcc_lo, 0, v4
	v_bfe_u32 v12, v9, 20, 11
	v_lshrrev_b32_e32 v7, 16, v7
	v_sub_nc_u32_e32 v13, 0x3f1, v10
	v_add_nc_u32_e32 v10, 0xfffffc10, v10
	s_wait_alu 0xfffd
	v_cndmask_b32_e64 v4, 0, 1, vcc_lo
	v_cmp_ne_u32_e32 vcc_lo, 0, v8
	v_lshrrev_b32_e32 v9, 16, v9
	s_delay_alu instid0(VALU_DEP_3) | instskip(SKIP_4) | instid1(VALU_DEP_3)
	v_and_or_b32 v4, 0xffe, v6, v4
	s_wait_alu 0xfffd
	v_cndmask_b32_e64 v8, 0, 1, vcc_lo
	v_sub_nc_u32_e32 v6, 0x3f1, v12
	v_add_nc_u32_e32 v12, 0xfffffc10, v12
	v_and_or_b32 v8, 0xffe, v11, v8
	v_med3_i32 v11, v13, 0, 13
	v_or_b32_e32 v13, 0x1000, v4
	v_med3_i32 v6, v6, 0, 13
	s_delay_alu instid0(VALU_DEP_4) | instskip(NEXT) | instid1(VALU_DEP_3)
	v_or_b32_e32 v14, 0x1000, v8
	v_lshrrev_b32_e32 v15, v11, v13
	s_delay_alu instid0(VALU_DEP_2) | instskip(NEXT) | instid1(VALU_DEP_2)
	v_lshrrev_b32_e32 v16, v6, v14
	v_lshlrev_b32_e32 v11, v11, v15
	s_delay_alu instid0(VALU_DEP_2) | instskip(NEXT) | instid1(VALU_DEP_2)
	v_lshlrev_b32_e32 v6, v6, v16
	v_cmp_ne_u32_e32 vcc_lo, v11, v13
	v_lshl_or_b32 v13, v10, 12, v4
	s_wait_alu 0xfffd
	v_cndmask_b32_e64 v11, 0, 1, vcc_lo
	v_cmp_ne_u32_e32 vcc_lo, v6, v14
	v_lshl_or_b32 v14, v12, 12, v8
	s_delay_alu instid0(VALU_DEP_3) | instskip(SKIP_3) | instid1(VALU_DEP_2)
	v_or_b32_e32 v11, v15, v11
	s_wait_alu 0xfffd
	v_cndmask_b32_e64 v6, 0, 1, vcc_lo
	v_cmp_gt_i32_e32 vcc_lo, 1, v10
	v_or_b32_e32 v6, v16, v6
	s_wait_alu 0xfffd
	v_cndmask_b32_e32 v11, v13, v11, vcc_lo
	v_cmp_gt_i32_e32 vcc_lo, 1, v12
	s_wait_alu 0xfffd
	s_delay_alu instid0(VALU_DEP_2) | instskip(SKIP_2) | instid1(VALU_DEP_3)
	v_dual_cndmask_b32 v6, v14, v6 :: v_dual_and_b32 v13, 7, v11
	v_cmp_ne_u32_e32 vcc_lo, 0, v4
	v_lshrrev_b32_e32 v11, 2, v11
	v_cmp_eq_u32_e64 s0, 3, v13
	s_delay_alu instid0(VALU_DEP_4)
	v_and_b32_e32 v14, 7, v6
	s_wait_alu 0xfffd
	v_cndmask_b32_e64 v4, 0, 1, vcc_lo
	v_cmp_ne_u32_e32 vcc_lo, 0, v8
	v_lshrrev_b32_e32 v6, 2, v6
	v_cmp_lt_i32_e64 s1, 5, v14
	v_cmp_eq_u32_e64 s2, 3, v14
	s_wait_alu 0xfffd
	v_cndmask_b32_e64 v8, 0, 1, vcc_lo
	v_cmp_lt_i32_e32 vcc_lo, 5, v13
	v_lshl_or_b32 v4, v4, 9, 0x7c00
	s_delay_alu instid0(VALU_DEP_3)
	v_lshl_or_b32 v8, v8, 9, 0x7c00
	s_or_b32 vcc_lo, s0, vcc_lo
	s_wait_alu 0xfffe
	v_add_co_ci_u32_e32 v11, vcc_lo, 0, v11, vcc_lo
	s_or_b32 vcc_lo, s2, s1
	s_wait_alu 0xfffe
	v_add_co_ci_u32_e32 v6, vcc_lo, 0, v6, vcc_lo
	v_cmp_gt_i32_e32 vcc_lo, 31, v10
	s_wait_alu 0xfffd
	v_cndmask_b32_e32 v11, 0x7c00, v11, vcc_lo
	v_cmp_gt_i32_e32 vcc_lo, 31, v12
	s_wait_alu 0xfffd
	v_cndmask_b32_e32 v6, 0x7c00, v6, vcc_lo
	v_cmp_eq_u32_e32 vcc_lo, 0x40f, v10
	s_wait_alu 0xfffd
	v_cndmask_b32_e32 v4, v11, v4, vcc_lo
	v_cmp_eq_u32_e32 vcc_lo, 0x40f, v12
	s_delay_alu instid0(VALU_DEP_2)
	v_and_or_b32 v4, 0x8000, v7, v4
	s_wait_alu 0xfffd
	v_cndmask_b32_e32 v6, v6, v8, vcc_lo
	v_add_co_u32 v2, vcc_lo, v2, s6
	s_wait_alu 0xfffd
	v_add_co_ci_u32_e32 v3, vcc_lo, s7, v3, vcc_lo
	s_delay_alu instid0(VALU_DEP_3) | instskip(SKIP_1) | instid1(VALU_DEP_1)
	v_and_or_b32 v6, 0x8000, v9, v6
	v_and_b32_e32 v4, 0xffff, v4
	v_lshl_or_b32 v4, v6, 16, v4
	v_lshrrev_b32_e32 v6, 16, v5
	global_store_b32 v[2:3], v4, off
	global_load_b32 v4, v26, s[12:13] offset:960
	s_wait_loadcnt 0x0
	v_lshrrev_b32_e32 v7, 16, v4
	s_delay_alu instid0(VALU_DEP_1) | instskip(SKIP_1) | instid1(VALU_DEP_2)
	v_mul_f16_e32 v8, v6, v7
	v_mul_f16_e32 v7, v5, v7
	v_fmac_f16_e32 v8, v5, v4
	s_delay_alu instid0(VALU_DEP_2) | instskip(NEXT) | instid1(VALU_DEP_2)
	v_fma_f16 v4, v4, v6, -v7
	v_cvt_f32_f16_e32 v5, v8
	s_delay_alu instid0(VALU_DEP_2) | instskip(NEXT) | instid1(VALU_DEP_2)
	v_cvt_f32_f16_e32 v6, v4
	v_cvt_f64_f32_e32 v[4:5], v5
	s_delay_alu instid0(VALU_DEP_2) | instskip(NEXT) | instid1(VALU_DEP_2)
	v_cvt_f64_f32_e32 v[6:7], v6
	v_mul_f64_e32 v[4:5], s[8:9], v[4:5]
	s_delay_alu instid0(VALU_DEP_2) | instskip(NEXT) | instid1(VALU_DEP_2)
	v_mul_f64_e32 v[6:7], s[8:9], v[6:7]
	v_and_or_b32 v4, 0x1ff, v5, v4
	s_delay_alu instid0(VALU_DEP_2)
	v_and_or_b32 v6, 0x1ff, v7, v6
	v_lshrrev_b32_e32 v8, 8, v5
	v_bfe_u32 v9, v5, 20, 11
	v_lshrrev_b32_e32 v10, 8, v7
	v_cmp_ne_u32_e32 vcc_lo, 0, v4
	v_bfe_u32 v11, v7, 20, 11
	v_lshrrev_b32_e32 v5, 16, v5
	v_sub_nc_u32_e32 v12, 0x3f1, v9
	v_add_nc_u32_e32 v9, 0xfffffc10, v9
	s_wait_alu 0xfffd
	v_cndmask_b32_e64 v4, 0, 1, vcc_lo
	v_cmp_ne_u32_e32 vcc_lo, 0, v6
	v_lshrrev_b32_e32 v7, 16, v7
	s_delay_alu instid0(VALU_DEP_3) | instskip(SKIP_4) | instid1(VALU_DEP_3)
	v_and_or_b32 v4, 0xffe, v8, v4
	s_wait_alu 0xfffd
	v_cndmask_b32_e64 v6, 0, 1, vcc_lo
	v_sub_nc_u32_e32 v8, 0x3f1, v11
	v_add_nc_u32_e32 v11, 0xfffffc10, v11
	v_and_or_b32 v6, 0xffe, v10, v6
	v_med3_i32 v10, v12, 0, 13
	v_or_b32_e32 v12, 0x1000, v4
	v_med3_i32 v8, v8, 0, 13
	s_delay_alu instid0(VALU_DEP_4) | instskip(NEXT) | instid1(VALU_DEP_3)
	v_or_b32_e32 v13, 0x1000, v6
	v_lshrrev_b32_e32 v14, v10, v12
	s_delay_alu instid0(VALU_DEP_2) | instskip(NEXT) | instid1(VALU_DEP_2)
	v_lshrrev_b32_e32 v15, v8, v13
	v_lshlrev_b32_e32 v10, v10, v14
	s_delay_alu instid0(VALU_DEP_2) | instskip(NEXT) | instid1(VALU_DEP_2)
	v_lshlrev_b32_e32 v8, v8, v15
	v_cmp_ne_u32_e32 vcc_lo, v10, v12
	v_lshl_or_b32 v12, v9, 12, v4
	s_wait_alu 0xfffd
	v_cndmask_b32_e64 v10, 0, 1, vcc_lo
	v_cmp_ne_u32_e32 vcc_lo, v8, v13
	v_lshl_or_b32 v13, v11, 12, v6
	s_delay_alu instid0(VALU_DEP_3) | instskip(SKIP_3) | instid1(VALU_DEP_2)
	v_or_b32_e32 v10, v14, v10
	s_wait_alu 0xfffd
	v_cndmask_b32_e64 v8, 0, 1, vcc_lo
	v_cmp_gt_i32_e32 vcc_lo, 1, v9
	v_or_b32_e32 v8, v15, v8
	s_wait_alu 0xfffd
	v_cndmask_b32_e32 v10, v12, v10, vcc_lo
	v_cmp_gt_i32_e32 vcc_lo, 1, v11
	s_delay_alu instid0(VALU_DEP_2)
	v_and_b32_e32 v12, 7, v10
	s_wait_alu 0xfffd
	v_cndmask_b32_e32 v8, v13, v8, vcc_lo
	v_cmp_ne_u32_e32 vcc_lo, 0, v4
	v_lshrrev_b32_e32 v10, 2, v10
	v_cmp_eq_u32_e64 s0, 3, v12
	s_delay_alu instid0(VALU_DEP_4)
	v_and_b32_e32 v13, 7, v8
	s_wait_alu 0xfffd
	v_cndmask_b32_e64 v4, 0, 1, vcc_lo
	v_cmp_ne_u32_e32 vcc_lo, 0, v6
	v_lshrrev_b32_e32 v8, 2, v8
	v_cmp_lt_i32_e64 s1, 5, v13
	v_cmp_eq_u32_e64 s2, 3, v13
	s_wait_alu 0xfffd
	v_cndmask_b32_e64 v6, 0, 1, vcc_lo
	v_cmp_lt_i32_e32 vcc_lo, 5, v12
	v_lshl_or_b32 v4, v4, 9, 0x7c00
	s_delay_alu instid0(VALU_DEP_3)
	v_lshl_or_b32 v6, v6, 9, 0x7c00
	s_or_b32 vcc_lo, s0, vcc_lo
	s_wait_alu 0xfffe
	v_add_co_ci_u32_e32 v10, vcc_lo, 0, v10, vcc_lo
	s_or_b32 vcc_lo, s2, s1
	s_wait_alu 0xfffe
	v_add_co_ci_u32_e32 v8, vcc_lo, 0, v8, vcc_lo
	v_cmp_gt_i32_e32 vcc_lo, 31, v9
	s_wait_alu 0xfffd
	v_cndmask_b32_e32 v10, 0x7c00, v10, vcc_lo
	v_cmp_gt_i32_e32 vcc_lo, 31, v11
	s_wait_alu 0xfffd
	v_cndmask_b32_e32 v8, 0x7c00, v8, vcc_lo
	v_cmp_eq_u32_e32 vcc_lo, 0x40f, v9
	s_wait_alu 0xfffd
	v_cndmask_b32_e32 v4, v10, v4, vcc_lo
	v_cmp_eq_u32_e32 vcc_lo, 0x40f, v11
	v_add_nc_u32_e32 v10, 0x400, v30
	s_delay_alu instid0(VALU_DEP_3)
	v_and_or_b32 v4, 0x8000, v5, v4
	s_wait_alu 0xfffd
	v_cndmask_b32_e32 v6, v8, v6, vcc_lo
	v_add_co_u32 v2, vcc_lo, v2, s6
	s_wait_alu 0xfffd
	v_add_co_ci_u32_e32 v3, vcc_lo, s7, v3, vcc_lo
	s_delay_alu instid0(VALU_DEP_3) | instskip(SKIP_1) | instid1(VALU_DEP_1)
	v_and_or_b32 v5, 0x8000, v7, v6
	v_and_b32_e32 v4, 0xffff, v4
	v_lshl_or_b32 v4, v5, 16, v4
	global_store_b32 v[2:3], v4, off
	global_load_b32 v6, v26, s[12:13] offset:1040
	ds_load_2addr_b32 v[4:5], v10 offset0:4 offset1:24
	s_wait_dscnt 0x0
	v_lshrrev_b32_e32 v7, 16, v4
	s_wait_loadcnt 0x0
	v_lshrrev_b32_e32 v8, 16, v6
	s_delay_alu instid0(VALU_DEP_1) | instskip(SKIP_1) | instid1(VALU_DEP_2)
	v_mul_f16_e32 v9, v7, v8
	v_mul_f16_e32 v8, v4, v8
	v_fmac_f16_e32 v9, v4, v6
	s_delay_alu instid0(VALU_DEP_2) | instskip(NEXT) | instid1(VALU_DEP_2)
	v_fma_f16 v4, v6, v7, -v8
	v_cvt_f32_f16_e32 v6, v9
	s_delay_alu instid0(VALU_DEP_2) | instskip(NEXT) | instid1(VALU_DEP_2)
	v_cvt_f32_f16_e32 v4, v4
	v_cvt_f64_f32_e32 v[6:7], v6
	s_delay_alu instid0(VALU_DEP_2) | instskip(NEXT) | instid1(VALU_DEP_2)
	v_cvt_f64_f32_e32 v[8:9], v4
	v_mul_f64_e32 v[6:7], s[8:9], v[6:7]
	s_delay_alu instid0(VALU_DEP_2) | instskip(NEXT) | instid1(VALU_DEP_2)
	v_mul_f64_e32 v[8:9], s[8:9], v[8:9]
	v_and_or_b32 v4, 0x1ff, v7, v6
	s_delay_alu instid0(VALU_DEP_2)
	v_and_or_b32 v8, 0x1ff, v9, v8
	v_lshrrev_b32_e32 v6, 8, v7
	v_bfe_u32 v11, v7, 20, 11
	v_lshrrev_b32_e32 v12, 8, v9
	v_cmp_ne_u32_e32 vcc_lo, 0, v4
	v_bfe_u32 v13, v9, 20, 11
	v_lshrrev_b32_e32 v7, 16, v7
	v_sub_nc_u32_e32 v14, 0x3f1, v11
	v_add_nc_u32_e32 v11, 0xfffffc10, v11
	s_wait_alu 0xfffd
	v_cndmask_b32_e64 v4, 0, 1, vcc_lo
	v_cmp_ne_u32_e32 vcc_lo, 0, v8
	v_lshrrev_b32_e32 v9, 16, v9
	s_delay_alu instid0(VALU_DEP_3) | instskip(SKIP_4) | instid1(VALU_DEP_3)
	v_and_or_b32 v4, 0xffe, v6, v4
	s_wait_alu 0xfffd
	v_cndmask_b32_e64 v8, 0, 1, vcc_lo
	v_sub_nc_u32_e32 v6, 0x3f1, v13
	v_add_nc_u32_e32 v13, 0xfffffc10, v13
	v_and_or_b32 v8, 0xffe, v12, v8
	v_med3_i32 v12, v14, 0, 13
	v_or_b32_e32 v14, 0x1000, v4
	v_med3_i32 v6, v6, 0, 13
	s_delay_alu instid0(VALU_DEP_4) | instskip(NEXT) | instid1(VALU_DEP_3)
	v_or_b32_e32 v15, 0x1000, v8
	v_lshrrev_b32_e32 v16, v12, v14
	s_delay_alu instid0(VALU_DEP_2) | instskip(NEXT) | instid1(VALU_DEP_2)
	v_lshrrev_b32_e32 v17, v6, v15
	v_lshlrev_b32_e32 v12, v12, v16
	s_delay_alu instid0(VALU_DEP_2) | instskip(NEXT) | instid1(VALU_DEP_2)
	v_lshlrev_b32_e32 v6, v6, v17
	v_cmp_ne_u32_e32 vcc_lo, v12, v14
	v_lshl_or_b32 v14, v11, 12, v4
	s_wait_alu 0xfffd
	v_cndmask_b32_e64 v12, 0, 1, vcc_lo
	v_cmp_ne_u32_e32 vcc_lo, v6, v15
	v_lshl_or_b32 v15, v13, 12, v8
	s_delay_alu instid0(VALU_DEP_3) | instskip(SKIP_3) | instid1(VALU_DEP_2)
	v_or_b32_e32 v12, v16, v12
	s_wait_alu 0xfffd
	v_cndmask_b32_e64 v6, 0, 1, vcc_lo
	v_cmp_gt_i32_e32 vcc_lo, 1, v11
	v_or_b32_e32 v6, v17, v6
	s_wait_alu 0xfffd
	v_cndmask_b32_e32 v12, v14, v12, vcc_lo
	v_cmp_gt_i32_e32 vcc_lo, 1, v13
	s_delay_alu instid0(VALU_DEP_2)
	v_and_b32_e32 v14, 7, v12
	s_wait_alu 0xfffd
	v_cndmask_b32_e32 v6, v15, v6, vcc_lo
	v_cmp_ne_u32_e32 vcc_lo, 0, v4
	v_lshrrev_b32_e32 v12, 2, v12
	v_cmp_eq_u32_e64 s0, 3, v14
	s_delay_alu instid0(VALU_DEP_4)
	v_and_b32_e32 v15, 7, v6
	s_wait_alu 0xfffd
	v_cndmask_b32_e64 v4, 0, 1, vcc_lo
	v_cmp_ne_u32_e32 vcc_lo, 0, v8
	v_lshrrev_b32_e32 v6, 2, v6
	v_cmp_lt_i32_e64 s1, 5, v15
	v_cmp_eq_u32_e64 s2, 3, v15
	s_wait_alu 0xfffd
	v_cndmask_b32_e64 v8, 0, 1, vcc_lo
	v_cmp_lt_i32_e32 vcc_lo, 5, v14
	v_lshl_or_b32 v4, v4, 9, 0x7c00
	s_delay_alu instid0(VALU_DEP_3)
	v_lshl_or_b32 v8, v8, 9, 0x7c00
	s_or_b32 vcc_lo, s0, vcc_lo
	s_wait_alu 0xfffe
	v_add_co_ci_u32_e32 v12, vcc_lo, 0, v12, vcc_lo
	s_or_b32 vcc_lo, s2, s1
	s_wait_alu 0xfffe
	v_add_co_ci_u32_e32 v6, vcc_lo, 0, v6, vcc_lo
	v_cmp_gt_i32_e32 vcc_lo, 31, v11
	s_wait_alu 0xfffd
	v_cndmask_b32_e32 v12, 0x7c00, v12, vcc_lo
	v_cmp_gt_i32_e32 vcc_lo, 31, v13
	s_wait_alu 0xfffd
	v_cndmask_b32_e32 v6, 0x7c00, v6, vcc_lo
	v_cmp_eq_u32_e32 vcc_lo, 0x40f, v11
	s_wait_alu 0xfffd
	v_cndmask_b32_e32 v4, v12, v4, vcc_lo
	v_cmp_eq_u32_e32 vcc_lo, 0x40f, v13
	s_delay_alu instid0(VALU_DEP_2)
	v_and_or_b32 v4, 0x8000, v7, v4
	s_wait_alu 0xfffd
	v_cndmask_b32_e32 v6, v6, v8, vcc_lo
	v_add_co_u32 v2, vcc_lo, v2, s6
	s_wait_alu 0xfffd
	v_add_co_ci_u32_e32 v3, vcc_lo, s7, v3, vcc_lo
	s_delay_alu instid0(VALU_DEP_3) | instskip(SKIP_1) | instid1(VALU_DEP_1)
	v_and_or_b32 v6, 0x8000, v9, v6
	v_and_b32_e32 v4, 0xffff, v4
	v_lshl_or_b32 v4, v6, 16, v4
	v_lshrrev_b32_e32 v6, 16, v5
	global_store_b32 v[2:3], v4, off
	global_load_b32 v4, v26, s[12:13] offset:1120
	s_wait_loadcnt 0x0
	v_lshrrev_b32_e32 v7, 16, v4
	s_delay_alu instid0(VALU_DEP_1) | instskip(SKIP_1) | instid1(VALU_DEP_2)
	v_mul_f16_e32 v8, v6, v7
	v_mul_f16_e32 v7, v5, v7
	v_fmac_f16_e32 v8, v5, v4
	s_delay_alu instid0(VALU_DEP_2) | instskip(NEXT) | instid1(VALU_DEP_2)
	v_fma_f16 v4, v4, v6, -v7
	v_cvt_f32_f16_e32 v5, v8
	s_delay_alu instid0(VALU_DEP_2) | instskip(NEXT) | instid1(VALU_DEP_2)
	v_cvt_f32_f16_e32 v6, v4
	v_cvt_f64_f32_e32 v[4:5], v5
	s_delay_alu instid0(VALU_DEP_2) | instskip(NEXT) | instid1(VALU_DEP_2)
	v_cvt_f64_f32_e32 v[6:7], v6
	v_mul_f64_e32 v[4:5], s[8:9], v[4:5]
	s_delay_alu instid0(VALU_DEP_2) | instskip(NEXT) | instid1(VALU_DEP_2)
	v_mul_f64_e32 v[6:7], s[8:9], v[6:7]
	v_and_or_b32 v4, 0x1ff, v5, v4
	s_delay_alu instid0(VALU_DEP_2)
	v_and_or_b32 v6, 0x1ff, v7, v6
	v_lshrrev_b32_e32 v8, 8, v5
	v_bfe_u32 v9, v5, 20, 11
	v_lshrrev_b32_e32 v11, 8, v7
	v_cmp_ne_u32_e32 vcc_lo, 0, v4
	v_bfe_u32 v12, v7, 20, 11
	v_lshrrev_b32_e32 v5, 16, v5
	v_sub_nc_u32_e32 v13, 0x3f1, v9
	v_add_nc_u32_e32 v9, 0xfffffc10, v9
	s_wait_alu 0xfffd
	v_cndmask_b32_e64 v4, 0, 1, vcc_lo
	v_cmp_ne_u32_e32 vcc_lo, 0, v6
	v_lshrrev_b32_e32 v7, 16, v7
	s_delay_alu instid0(VALU_DEP_3) | instskip(SKIP_4) | instid1(VALU_DEP_3)
	v_and_or_b32 v4, 0xffe, v8, v4
	s_wait_alu 0xfffd
	v_cndmask_b32_e64 v6, 0, 1, vcc_lo
	v_sub_nc_u32_e32 v8, 0x3f1, v12
	v_add_nc_u32_e32 v12, 0xfffffc10, v12
	v_and_or_b32 v6, 0xffe, v11, v6
	v_med3_i32 v11, v13, 0, 13
	v_or_b32_e32 v13, 0x1000, v4
	v_med3_i32 v8, v8, 0, 13
	s_delay_alu instid0(VALU_DEP_4) | instskip(NEXT) | instid1(VALU_DEP_3)
	v_or_b32_e32 v14, 0x1000, v6
	v_lshrrev_b32_e32 v15, v11, v13
	s_delay_alu instid0(VALU_DEP_2) | instskip(NEXT) | instid1(VALU_DEP_2)
	v_lshrrev_b32_e32 v16, v8, v14
	v_lshlrev_b32_e32 v11, v11, v15
	s_delay_alu instid0(VALU_DEP_2) | instskip(NEXT) | instid1(VALU_DEP_2)
	v_lshlrev_b32_e32 v8, v8, v16
	v_cmp_ne_u32_e32 vcc_lo, v11, v13
	v_lshl_or_b32 v13, v9, 12, v4
	s_wait_alu 0xfffd
	v_cndmask_b32_e64 v11, 0, 1, vcc_lo
	v_cmp_ne_u32_e32 vcc_lo, v8, v14
	v_lshl_or_b32 v14, v12, 12, v6
	s_delay_alu instid0(VALU_DEP_3) | instskip(SKIP_3) | instid1(VALU_DEP_2)
	v_or_b32_e32 v11, v15, v11
	s_wait_alu 0xfffd
	v_cndmask_b32_e64 v8, 0, 1, vcc_lo
	v_cmp_gt_i32_e32 vcc_lo, 1, v9
	v_or_b32_e32 v8, v16, v8
	s_wait_alu 0xfffd
	v_cndmask_b32_e32 v11, v13, v11, vcc_lo
	v_cmp_gt_i32_e32 vcc_lo, 1, v12
	s_wait_alu 0xfffd
	s_delay_alu instid0(VALU_DEP_2) | instskip(SKIP_2) | instid1(VALU_DEP_3)
	v_dual_cndmask_b32 v8, v14, v8 :: v_dual_and_b32 v13, 7, v11
	v_cmp_ne_u32_e32 vcc_lo, 0, v4
	v_lshrrev_b32_e32 v11, 2, v11
	v_cmp_eq_u32_e64 s0, 3, v13
	s_delay_alu instid0(VALU_DEP_4)
	v_and_b32_e32 v14, 7, v8
	s_wait_alu 0xfffd
	v_cndmask_b32_e64 v4, 0, 1, vcc_lo
	v_cmp_ne_u32_e32 vcc_lo, 0, v6
	v_lshrrev_b32_e32 v8, 2, v8
	v_cmp_lt_i32_e64 s1, 5, v14
	v_cmp_eq_u32_e64 s2, 3, v14
	s_wait_alu 0xfffd
	v_cndmask_b32_e64 v6, 0, 1, vcc_lo
	v_cmp_lt_i32_e32 vcc_lo, 5, v13
	v_lshl_or_b32 v4, v4, 9, 0x7c00
	s_delay_alu instid0(VALU_DEP_3)
	v_lshl_or_b32 v6, v6, 9, 0x7c00
	s_or_b32 vcc_lo, s0, vcc_lo
	s_wait_alu 0xfffe
	v_add_co_ci_u32_e32 v11, vcc_lo, 0, v11, vcc_lo
	s_or_b32 vcc_lo, s2, s1
	s_wait_alu 0xfffe
	v_add_co_ci_u32_e32 v8, vcc_lo, 0, v8, vcc_lo
	v_cmp_gt_i32_e32 vcc_lo, 31, v9
	s_wait_alu 0xfffd
	v_cndmask_b32_e32 v11, 0x7c00, v11, vcc_lo
	v_cmp_gt_i32_e32 vcc_lo, 31, v12
	s_wait_alu 0xfffd
	v_cndmask_b32_e32 v8, 0x7c00, v8, vcc_lo
	v_cmp_eq_u32_e32 vcc_lo, 0x40f, v9
	s_wait_alu 0xfffd
	v_cndmask_b32_e32 v4, v11, v4, vcc_lo
	v_cmp_eq_u32_e32 vcc_lo, 0x40f, v12
	s_delay_alu instid0(VALU_DEP_2)
	v_and_or_b32 v4, 0x8000, v5, v4
	s_wait_alu 0xfffd
	v_cndmask_b32_e32 v6, v8, v6, vcc_lo
	v_add_co_u32 v2, vcc_lo, v2, s6
	s_wait_alu 0xfffd
	v_add_co_ci_u32_e32 v3, vcc_lo, s7, v3, vcc_lo
	s_delay_alu instid0(VALU_DEP_3) | instskip(SKIP_1) | instid1(VALU_DEP_1)
	v_and_or_b32 v5, 0x8000, v7, v6
	v_and_b32_e32 v4, 0xffff, v4
	v_lshl_or_b32 v4, v5, 16, v4
	global_store_b32 v[2:3], v4, off
	global_load_b32 v6, v26, s[12:13] offset:1200
	ds_load_2addr_b32 v[4:5], v10 offset0:44 offset1:64
	s_wait_dscnt 0x0
	v_lshrrev_b32_e32 v7, 16, v4
	s_wait_loadcnt 0x0
	v_lshrrev_b32_e32 v8, 16, v6
	s_delay_alu instid0(VALU_DEP_1) | instskip(SKIP_1) | instid1(VALU_DEP_2)
	v_mul_f16_e32 v9, v7, v8
	v_mul_f16_e32 v8, v4, v8
	v_fmac_f16_e32 v9, v4, v6
	s_delay_alu instid0(VALU_DEP_2) | instskip(NEXT) | instid1(VALU_DEP_2)
	v_fma_f16 v4, v6, v7, -v8
	v_cvt_f32_f16_e32 v6, v9
	s_delay_alu instid0(VALU_DEP_2) | instskip(NEXT) | instid1(VALU_DEP_2)
	v_cvt_f32_f16_e32 v4, v4
	v_cvt_f64_f32_e32 v[6:7], v6
	s_delay_alu instid0(VALU_DEP_2) | instskip(NEXT) | instid1(VALU_DEP_2)
	v_cvt_f64_f32_e32 v[8:9], v4
	v_mul_f64_e32 v[6:7], s[8:9], v[6:7]
	s_delay_alu instid0(VALU_DEP_2) | instskip(NEXT) | instid1(VALU_DEP_2)
	v_mul_f64_e32 v[8:9], s[8:9], v[8:9]
	v_and_or_b32 v4, 0x1ff, v7, v6
	s_delay_alu instid0(VALU_DEP_2)
	v_and_or_b32 v8, 0x1ff, v9, v8
	v_lshrrev_b32_e32 v6, 8, v7
	v_bfe_u32 v10, v7, 20, 11
	v_lshrrev_b32_e32 v11, 8, v9
	v_cmp_ne_u32_e32 vcc_lo, 0, v4
	v_bfe_u32 v12, v9, 20, 11
	v_lshrrev_b32_e32 v7, 16, v7
	v_sub_nc_u32_e32 v13, 0x3f1, v10
	v_add_nc_u32_e32 v10, 0xfffffc10, v10
	s_wait_alu 0xfffd
	v_cndmask_b32_e64 v4, 0, 1, vcc_lo
	v_cmp_ne_u32_e32 vcc_lo, 0, v8
	v_lshrrev_b32_e32 v9, 16, v9
	s_delay_alu instid0(VALU_DEP_3) | instskip(SKIP_4) | instid1(VALU_DEP_3)
	v_and_or_b32 v4, 0xffe, v6, v4
	s_wait_alu 0xfffd
	v_cndmask_b32_e64 v8, 0, 1, vcc_lo
	v_sub_nc_u32_e32 v6, 0x3f1, v12
	v_add_nc_u32_e32 v12, 0xfffffc10, v12
	v_and_or_b32 v8, 0xffe, v11, v8
	v_med3_i32 v11, v13, 0, 13
	v_or_b32_e32 v13, 0x1000, v4
	v_med3_i32 v6, v6, 0, 13
	s_delay_alu instid0(VALU_DEP_4) | instskip(NEXT) | instid1(VALU_DEP_3)
	v_or_b32_e32 v14, 0x1000, v8
	v_lshrrev_b32_e32 v15, v11, v13
	s_delay_alu instid0(VALU_DEP_2) | instskip(NEXT) | instid1(VALU_DEP_2)
	v_lshrrev_b32_e32 v16, v6, v14
	v_lshlrev_b32_e32 v11, v11, v15
	s_delay_alu instid0(VALU_DEP_2) | instskip(NEXT) | instid1(VALU_DEP_2)
	v_lshlrev_b32_e32 v6, v6, v16
	v_cmp_ne_u32_e32 vcc_lo, v11, v13
	v_lshl_or_b32 v13, v10, 12, v4
	s_wait_alu 0xfffd
	v_cndmask_b32_e64 v11, 0, 1, vcc_lo
	v_cmp_ne_u32_e32 vcc_lo, v6, v14
	v_lshl_or_b32 v14, v12, 12, v8
	s_delay_alu instid0(VALU_DEP_3) | instskip(SKIP_3) | instid1(VALU_DEP_2)
	v_or_b32_e32 v11, v15, v11
	s_wait_alu 0xfffd
	v_cndmask_b32_e64 v6, 0, 1, vcc_lo
	v_cmp_gt_i32_e32 vcc_lo, 1, v10
	v_or_b32_e32 v6, v16, v6
	s_wait_alu 0xfffd
	v_cndmask_b32_e32 v11, v13, v11, vcc_lo
	v_cmp_gt_i32_e32 vcc_lo, 1, v12
	s_wait_alu 0xfffd
	s_delay_alu instid0(VALU_DEP_2) | instskip(SKIP_2) | instid1(VALU_DEP_3)
	v_dual_cndmask_b32 v6, v14, v6 :: v_dual_and_b32 v13, 7, v11
	v_cmp_ne_u32_e32 vcc_lo, 0, v4
	v_lshrrev_b32_e32 v11, 2, v11
	v_cmp_eq_u32_e64 s0, 3, v13
	s_delay_alu instid0(VALU_DEP_4)
	v_and_b32_e32 v14, 7, v6
	s_wait_alu 0xfffd
	v_cndmask_b32_e64 v4, 0, 1, vcc_lo
	v_cmp_ne_u32_e32 vcc_lo, 0, v8
	v_lshrrev_b32_e32 v6, 2, v6
	v_cmp_lt_i32_e64 s1, 5, v14
	v_cmp_eq_u32_e64 s2, 3, v14
	s_wait_alu 0xfffd
	v_cndmask_b32_e64 v8, 0, 1, vcc_lo
	v_cmp_lt_i32_e32 vcc_lo, 5, v13
	v_lshl_or_b32 v4, v4, 9, 0x7c00
	s_delay_alu instid0(VALU_DEP_3)
	v_lshl_or_b32 v8, v8, 9, 0x7c00
	s_or_b32 vcc_lo, s0, vcc_lo
	s_wait_alu 0xfffe
	v_add_co_ci_u32_e32 v11, vcc_lo, 0, v11, vcc_lo
	s_or_b32 vcc_lo, s2, s1
	s_wait_alu 0xfffe
	v_add_co_ci_u32_e32 v6, vcc_lo, 0, v6, vcc_lo
	v_cmp_gt_i32_e32 vcc_lo, 31, v10
	s_wait_alu 0xfffd
	v_cndmask_b32_e32 v11, 0x7c00, v11, vcc_lo
	v_cmp_gt_i32_e32 vcc_lo, 31, v12
	s_wait_alu 0xfffd
	v_cndmask_b32_e32 v6, 0x7c00, v6, vcc_lo
	v_cmp_eq_u32_e32 vcc_lo, 0x40f, v10
	s_wait_alu 0xfffd
	v_cndmask_b32_e32 v4, v11, v4, vcc_lo
	v_cmp_eq_u32_e32 vcc_lo, 0x40f, v12
	s_delay_alu instid0(VALU_DEP_2)
	v_and_or_b32 v4, 0x8000, v7, v4
	s_wait_alu 0xfffd
	v_cndmask_b32_e32 v6, v6, v8, vcc_lo
	v_add_co_u32 v2, vcc_lo, v2, s6
	s_wait_alu 0xfffd
	v_add_co_ci_u32_e32 v3, vcc_lo, s7, v3, vcc_lo
	s_delay_alu instid0(VALU_DEP_3) | instskip(SKIP_1) | instid1(VALU_DEP_1)
	v_and_or_b32 v6, 0x8000, v9, v6
	v_and_b32_e32 v4, 0xffff, v4
	v_lshl_or_b32 v4, v6, 16, v4
	global_store_b32 v[2:3], v4, off
	global_load_b32 v2, v26, s[12:13] offset:1280
	v_lshrrev_b32_e32 v3, 16, v5
	s_wait_loadcnt 0x0
	v_lshrrev_b32_e32 v4, 16, v2
	s_delay_alu instid0(VALU_DEP_1) | instskip(SKIP_1) | instid1(VALU_DEP_2)
	v_mul_f16_e32 v6, v3, v4
	v_mul_f16_e32 v4, v5, v4
	v_fmac_f16_e32 v6, v5, v2
	s_delay_alu instid0(VALU_DEP_2) | instskip(NEXT) | instid1(VALU_DEP_2)
	v_fma_f16 v2, v2, v3, -v4
	v_cvt_f32_f16_e32 v3, v6
	s_delay_alu instid0(VALU_DEP_2) | instskip(NEXT) | instid1(VALU_DEP_2)
	v_cvt_f32_f16_e32 v4, v2
	v_cvt_f64_f32_e32 v[2:3], v3
	s_delay_alu instid0(VALU_DEP_2) | instskip(NEXT) | instid1(VALU_DEP_2)
	v_cvt_f64_f32_e32 v[4:5], v4
	v_mul_f64_e32 v[2:3], s[8:9], v[2:3]
	s_delay_alu instid0(VALU_DEP_2) | instskip(NEXT) | instid1(VALU_DEP_2)
	v_mul_f64_e32 v[4:5], s[8:9], v[4:5]
	v_and_or_b32 v2, 0x1ff, v3, v2
	s_delay_alu instid0(VALU_DEP_2)
	v_and_or_b32 v4, 0x1ff, v5, v4
	v_lshrrev_b32_e32 v6, 8, v3
	v_bfe_u32 v8, v3, 20, 11
	v_bfe_u32 v9, v5, 20, 11
	v_cmp_ne_u32_e32 vcc_lo, 0, v2
	v_lshrrev_b32_e32 v7, 8, v5
	v_lshrrev_b32_e32 v5, 16, v5
	v_sub_nc_u32_e32 v10, 0x3f1, v8
	v_sub_nc_u32_e32 v11, 0x3f1, v9
	s_wait_alu 0xfffd
	v_cndmask_b32_e64 v2, 0, 1, vcc_lo
	v_cmp_ne_u32_e32 vcc_lo, 0, v4
	v_add_nc_u32_e32 v9, 0xfffffc10, v9
	s_delay_alu instid0(VALU_DEP_3)
	v_and_or_b32 v12, 0xffe, v6, v2
	s_wait_alu 0xfffd
	v_cndmask_b32_e64 v4, 0, 1, vcc_lo
	v_med3_i32 v2, v10, 0, 13
	v_med3_i32 v10, v11, 0, 13
	v_or_b32_e32 v11, 0x1000, v12
	s_delay_alu instid0(VALU_DEP_4) | instskip(SKIP_1) | instid1(VALU_DEP_3)
	v_and_or_b32 v4, 0xffe, v7, v4
	v_mad_co_u64_u32 v[6:7], null, s4, v25, 0
	v_lshrrev_b32_e32 v14, v2, v11
	s_delay_alu instid0(VALU_DEP_3) | instskip(NEXT) | instid1(VALU_DEP_2)
	v_or_b32_e32 v13, 0x1000, v4
	v_lshlrev_b32_e32 v16, v2, v14
	s_delay_alu instid0(VALU_DEP_2) | instskip(SKIP_1) | instid1(VALU_DEP_3)
	v_lshrrev_b32_e32 v15, v10, v13
	v_mov_b32_e32 v2, v7
	v_cmp_ne_u32_e32 vcc_lo, v16, v11
	s_delay_alu instid0(VALU_DEP_3) | instskip(SKIP_3) | instid1(VALU_DEP_3)
	v_lshlrev_b32_e32 v7, v10, v15
	v_add_nc_u32_e32 v10, 0xfffffc10, v8
	s_wait_alu 0xfffd
	v_cndmask_b32_e64 v11, 0, 1, vcc_lo
	v_cmp_ne_u32_e32 vcc_lo, v7, v13
	v_mad_co_u64_u32 v[7:8], null, s5, v25, v[2:3]
	v_lshl_or_b32 v2, v10, 12, v12
	s_delay_alu instid0(VALU_DEP_4)
	v_or_b32_e32 v8, v14, v11
	s_wait_alu 0xfffd
	v_cndmask_b32_e64 v13, 0, 1, vcc_lo
	v_cmp_gt_i32_e32 vcc_lo, 1, v10
	v_lshl_or_b32 v11, v9, 12, v4
	v_lshrrev_b32_e32 v3, 16, v3
	s_delay_alu instid0(VALU_DEP_4)
	v_or_b32_e32 v13, v15, v13
	s_wait_alu 0xfffd
	v_cndmask_b32_e32 v2, v2, v8, vcc_lo
	v_cmp_gt_i32_e32 vcc_lo, 1, v9
	s_wait_alu 0xfffd
	v_cndmask_b32_e32 v8, v11, v13, vcc_lo
	v_cmp_ne_u32_e32 vcc_lo, 0, v12
	v_and_b32_e32 v12, 7, v2
	v_lshrrev_b32_e32 v2, 2, v2
	s_delay_alu instid0(VALU_DEP_4)
	v_and_b32_e32 v13, 7, v8
	s_wait_alu 0xfffd
	v_cndmask_b32_e64 v11, 0, 1, vcc_lo
	v_cmp_ne_u32_e32 vcc_lo, 0, v4
	v_cmp_eq_u32_e64 s0, 3, v12
	v_lshrrev_b32_e32 v8, 2, v8
	v_cmp_lt_i32_e64 s1, 5, v13
	v_cmp_eq_u32_e64 s2, 3, v13
	s_wait_alu 0xfffd
	v_cndmask_b32_e64 v4, 0, 1, vcc_lo
	v_cmp_lt_i32_e32 vcc_lo, 5, v12
	v_lshl_or_b32 v11, v11, 9, 0x7c00
	s_delay_alu instid0(VALU_DEP_3)
	v_lshl_or_b32 v4, v4, 9, 0x7c00
	s_or_b32 vcc_lo, s0, vcc_lo
	s_wait_alu 0xfffe
	v_add_co_ci_u32_e32 v2, vcc_lo, 0, v2, vcc_lo
	s_or_b32 vcc_lo, s2, s1
	s_wait_alu 0xfffe
	v_add_co_ci_u32_e32 v8, vcc_lo, 0, v8, vcc_lo
	v_cmp_gt_i32_e32 vcc_lo, 31, v10
	s_wait_alu 0xfffd
	v_cndmask_b32_e32 v2, 0x7c00, v2, vcc_lo
	v_cmp_gt_i32_e32 vcc_lo, 31, v9
	s_wait_alu 0xfffd
	v_cndmask_b32_e32 v8, 0x7c00, v8, vcc_lo
	v_cmp_eq_u32_e32 vcc_lo, 0x40f, v10
	s_wait_alu 0xfffd
	v_cndmask_b32_e32 v2, v2, v11, vcc_lo
	v_cmp_eq_u32_e32 vcc_lo, 0x40f, v9
	s_delay_alu instid0(VALU_DEP_2) | instskip(SKIP_2) | instid1(VALU_DEP_1)
	v_and_or_b32 v2, 0x8000, v3, v2
	s_wait_alu 0xfffd
	v_cndmask_b32_e32 v4, v8, v4, vcc_lo
	v_and_or_b32 v4, 0x8000, v5, v4
	s_delay_alu instid0(VALU_DEP_3) | instskip(SKIP_1) | instid1(VALU_DEP_2)
	v_and_b32_e32 v5, 0xffff, v2
	v_lshlrev_b64_e32 v[2:3], 2, v[6:7]
	v_lshl_or_b32 v4, v4, 16, v5
	s_delay_alu instid0(VALU_DEP_2) | instskip(SKIP_1) | instid1(VALU_DEP_3)
	v_add_co_u32 v0, vcc_lo, v0, v2
	s_wait_alu 0xfffd
	v_add_co_ci_u32_e32 v1, vcc_lo, v1, v3, vcc_lo
	global_store_b32 v[0:1], v4, off
.LBB0_15:
	s_nop 0
	s_sendmsg sendmsg(MSG_DEALLOC_VGPRS)
	s_endpgm
	.section	.rodata,"a",@progbits
	.p2align	6, 0x0
	.amdhsa_kernel bluestein_single_back_len340_dim1_half_op_CI_CI
		.amdhsa_group_segment_fixed_size 4080
		.amdhsa_private_segment_fixed_size 0
		.amdhsa_kernarg_size 104
		.amdhsa_user_sgpr_count 2
		.amdhsa_user_sgpr_dispatch_ptr 0
		.amdhsa_user_sgpr_queue_ptr 0
		.amdhsa_user_sgpr_kernarg_segment_ptr 1
		.amdhsa_user_sgpr_dispatch_id 0
		.amdhsa_user_sgpr_private_segment_size 0
		.amdhsa_wavefront_size32 1
		.amdhsa_uses_dynamic_stack 0
		.amdhsa_enable_private_segment 0
		.amdhsa_system_sgpr_workgroup_id_x 1
		.amdhsa_system_sgpr_workgroup_id_y 0
		.amdhsa_system_sgpr_workgroup_id_z 0
		.amdhsa_system_sgpr_workgroup_info 0
		.amdhsa_system_vgpr_workitem_id 0
		.amdhsa_next_free_vgpr 225
		.amdhsa_next_free_sgpr 16
		.amdhsa_reserve_vcc 1
		.amdhsa_float_round_mode_32 0
		.amdhsa_float_round_mode_16_64 0
		.amdhsa_float_denorm_mode_32 3
		.amdhsa_float_denorm_mode_16_64 3
		.amdhsa_fp16_overflow 0
		.amdhsa_workgroup_processor_mode 1
		.amdhsa_memory_ordered 1
		.amdhsa_forward_progress 0
		.amdhsa_round_robin_scheduling 0
		.amdhsa_exception_fp_ieee_invalid_op 0
		.amdhsa_exception_fp_denorm_src 0
		.amdhsa_exception_fp_ieee_div_zero 0
		.amdhsa_exception_fp_ieee_overflow 0
		.amdhsa_exception_fp_ieee_underflow 0
		.amdhsa_exception_fp_ieee_inexact 0
		.amdhsa_exception_int_div_zero 0
	.end_amdhsa_kernel
	.text
.Lfunc_end0:
	.size	bluestein_single_back_len340_dim1_half_op_CI_CI, .Lfunc_end0-bluestein_single_back_len340_dim1_half_op_CI_CI
                                        ; -- End function
	.section	.AMDGPU.csdata,"",@progbits
; Kernel info:
; codeLenInByte = 32424
; NumSgprs: 18
; NumVgprs: 225
; ScratchSize: 0
; MemoryBound: 0
; FloatMode: 240
; IeeeMode: 1
; LDSByteSize: 4080 bytes/workgroup (compile time only)
; SGPRBlocks: 2
; VGPRBlocks: 28
; NumSGPRsForWavesPerEU: 18
; NumVGPRsForWavesPerEU: 225
; Occupancy: 6
; WaveLimiterHint : 1
; COMPUTE_PGM_RSRC2:SCRATCH_EN: 0
; COMPUTE_PGM_RSRC2:USER_SGPR: 2
; COMPUTE_PGM_RSRC2:TRAP_HANDLER: 0
; COMPUTE_PGM_RSRC2:TGID_X_EN: 1
; COMPUTE_PGM_RSRC2:TGID_Y_EN: 0
; COMPUTE_PGM_RSRC2:TGID_Z_EN: 0
; COMPUTE_PGM_RSRC2:TIDIG_COMP_CNT: 0
	.text
	.p2alignl 7, 3214868480
	.fill 96, 4, 3214868480
	.type	__hip_cuid_4b5ff77f72c2abd8,@object ; @__hip_cuid_4b5ff77f72c2abd8
	.section	.bss,"aw",@nobits
	.globl	__hip_cuid_4b5ff77f72c2abd8
__hip_cuid_4b5ff77f72c2abd8:
	.byte	0                               ; 0x0
	.size	__hip_cuid_4b5ff77f72c2abd8, 1

	.ident	"AMD clang version 19.0.0git (https://github.com/RadeonOpenCompute/llvm-project roc-6.4.0 25133 c7fe45cf4b819c5991fe208aaa96edf142730f1d)"
	.section	".note.GNU-stack","",@progbits
	.addrsig
	.addrsig_sym __hip_cuid_4b5ff77f72c2abd8
	.amdgpu_metadata
---
amdhsa.kernels:
  - .args:
      - .actual_access:  read_only
        .address_space:  global
        .offset:         0
        .size:           8
        .value_kind:     global_buffer
      - .actual_access:  read_only
        .address_space:  global
        .offset:         8
        .size:           8
        .value_kind:     global_buffer
      - .actual_access:  read_only
        .address_space:  global
        .offset:         16
        .size:           8
        .value_kind:     global_buffer
      - .actual_access:  read_only
        .address_space:  global
        .offset:         24
        .size:           8
        .value_kind:     global_buffer
      - .actual_access:  read_only
        .address_space:  global
        .offset:         32
        .size:           8
        .value_kind:     global_buffer
      - .offset:         40
        .size:           8
        .value_kind:     by_value
      - .address_space:  global
        .offset:         48
        .size:           8
        .value_kind:     global_buffer
      - .address_space:  global
        .offset:         56
        .size:           8
        .value_kind:     global_buffer
      - .address_space:  global
        .offset:         64
        .size:           8
        .value_kind:     global_buffer
      - .address_space:  global
        .offset:         72
        .size:           8
        .value_kind:     global_buffer
      - .offset:         80
        .size:           4
        .value_kind:     by_value
      - .address_space:  global
        .offset:         88
        .size:           8
        .value_kind:     global_buffer
      - .address_space:  global
        .offset:         96
        .size:           8
        .value_kind:     global_buffer
    .group_segment_fixed_size: 4080
    .kernarg_segment_align: 8
    .kernarg_segment_size: 104
    .language:       OpenCL C
    .language_version:
      - 2
      - 0
    .max_flat_workgroup_size: 102
    .name:           bluestein_single_back_len340_dim1_half_op_CI_CI
    .private_segment_fixed_size: 0
    .sgpr_count:     18
    .sgpr_spill_count: 0
    .symbol:         bluestein_single_back_len340_dim1_half_op_CI_CI.kd
    .uniform_work_group_size: 1
    .uses_dynamic_stack: false
    .vgpr_count:     225
    .vgpr_spill_count: 0
    .wavefront_size: 32
    .workgroup_processor_mode: 1
amdhsa.target:   amdgcn-amd-amdhsa--gfx1201
amdhsa.version:
  - 1
  - 2
...

	.end_amdgpu_metadata
